;; amdgpu-corpus repo=ROCm/rocSOLVER kind=compiled arch=gfx1100 opt=O3
	.text
	.amdgcn_target "amdgcn-amd-amdhsa--gfx1100"
	.amdhsa_code_object_version 6
	.section	.text._ZN9rocsolver6v33100L11lasr_kernelIffPfiEEv13rocblas_side_14rocblas_pivot_15rocblas_direct_T2_S6_PT0_lS8_lT1_lS6_lS6_,"axG",@progbits,_ZN9rocsolver6v33100L11lasr_kernelIffPfiEEv13rocblas_side_14rocblas_pivot_15rocblas_direct_T2_S6_PT0_lS8_lT1_lS6_lS6_,comdat
	.globl	_ZN9rocsolver6v33100L11lasr_kernelIffPfiEEv13rocblas_side_14rocblas_pivot_15rocblas_direct_T2_S6_PT0_lS8_lT1_lS6_lS6_ ; -- Begin function _ZN9rocsolver6v33100L11lasr_kernelIffPfiEEv13rocblas_side_14rocblas_pivot_15rocblas_direct_T2_S6_PT0_lS8_lT1_lS6_lS6_
	.p2align	8
	.type	_ZN9rocsolver6v33100L11lasr_kernelIffPfiEEv13rocblas_side_14rocblas_pivot_15rocblas_direct_T2_S6_PT0_lS8_lT1_lS6_lS6_,@function
_ZN9rocsolver6v33100L11lasr_kernelIffPfiEEv13rocblas_side_14rocblas_pivot_15rocblas_direct_T2_S6_PT0_lS8_lT1_lS6_lS6_: ; @_ZN9rocsolver6v33100L11lasr_kernelIffPfiEEv13rocblas_side_14rocblas_pivot_15rocblas_direct_T2_S6_PT0_lS8_lT1_lS6_lS6_
; %bb.0:
	s_load_b32 s33, s[0:1], 0x58
	s_waitcnt lgkmcnt(0)
	s_cmp_ge_u32 s15, s33
	s_cbranch_scc1 .LBB0_98
; %bb.1:
	s_clause 0x5
	s_load_b32 s12, s[0:1], 0x48
	s_load_b128 s[20:23], s[0:1], 0x38
	s_load_b64 s[24:25], s[0:1], 0x68
	s_load_b128 s[16:19], s[0:1], 0x0
	s_load_b32 s52, s[0:1], 0x10
	s_load_b32 s28, s[0:1], 0x60
	s_mov_b32 s43, 0
	v_mov_b32_e32 v32, 0
	s_mov_b32 s45, s43
	s_waitcnt lgkmcnt(0)
	s_ashr_i32 s13, s12, 31
	s_lshl_b64 s[2:3], s[22:23], 2
	s_and_b32 s26, s25, 0xffff
	s_add_u32 s25, s20, s2
	s_addc_u32 s53, s21, s3
	s_cmpk_lg_i32 s16, 0x8d
	v_mad_u64_u32 v[1:2], null, s14, s26, v[0:1]
	s_cselect_b32 s27, -1, 0
	s_cmpk_lg_i32 s16, 0x8e
	s_mov_b32 s22, s19
	s_cselect_b32 s30, -1, 0
	s_cmpk_lg_i32 s17, 0x119
	s_cselect_b32 s29, -1, 0
	s_cmpk_lg_i32 s17, 0x11b
	v_mad_i64_i32 v[2:3], null, s12, v1, 0
	s_cselect_b32 s31, -1, 0
	s_cmpk_lg_i32 s17, 0x11a
	s_load_b64 s[16:17], s[0:1], 0x50
	s_cselect_b32 s34, -1, 0
	s_cmpk_lg_i32 s18, 0xab
	s_mul_i32 s26, s28, s26
	s_cselect_b32 s35, -1, 0
	s_or_b32 s36, s27, s29
	s_ashr_i32 s23, s19, 31
	s_or_b32 s4, s36, s35
	s_add_i32 s42, s19, -2
	s_xor_b32 s14, s4, -1
	s_cmpk_lg_i32 s18, 0xac
	s_load_b256 s[4:11], s[0:1], 0x18
	s_cselect_b32 s37, -1, 0
	v_lshlrev_b64 v[2:3], 2, v[2:3]
	s_or_b32 s0, s36, s37
	v_cmp_le_i32_e32 vcc_lo, s19, v1
	s_xor_b32 s18, s0, -1
	s_cmp_gt_i32 s19, 1
	v_cmp_gt_i32_e64 s0, s52, v1
	s_cselect_b32 s54, -1, 0
	s_or_b32 s1, s27, s34
	s_or_b32 s27, s27, s31
	s_or_b32 s28, s30, s29
	s_or_b32 s29, s1, s35
	s_or_b32 s1, s1, s37
	s_or_b32 s36, s27, s35
	s_or_b32 s27, s27, s37
	s_or_b32 s38, s28, s35
	s_or_b32 s28, s28, s37
	s_xor_b32 s55, s29, -1
	s_xor_b32 s56, s1, -1
	;; [unrolled: 1-line block ×5, first 2 shown]
	s_add_i32 s60, s52, -1
	s_xor_b32 s61, s28, -1
	s_add_i32 s44, s52, -2
	s_cmp_gt_i32 s52, 1
	s_mul_i32 s36, s12, s26
	s_cselect_b32 s62, -1, 0
	s_or_b32 s27, s30, s34
	s_lshl_b64 s[38:39], s[42:43], 2
	s_or_b32 s34, s27, s35
	s_or_b32 s27, s27, s37
	s_xor_b32 s63, s34, -1
	s_xor_b32 s64, s27, -1
	s_or_b32 s27, s30, s31
	s_or_b32 s30, s37, vcc_lo
	v_add_co_u32 v4, vcc_lo, v2, s2
	v_add_co_ci_u32_e32 v3, vcc_lo, s3, v3, vcc_lo
	s_or_b32 s31, s27, s35
	s_or_b32 s27, s27, s30
	s_mul_hi_i32 s37, s12, s26
	v_add_co_u32 v0, vcc_lo, s20, v4
	s_xor_b32 s65, s31, -1
	s_xor_b32 s66, s27, -1
	s_add_i32 s30, s19, -1
	s_waitcnt lgkmcnt(0)
	s_lshl_b64 s[34:35], s[16:17], 2
	s_ashr_i32 s27, s26, 31
	s_lshl_b64 s[36:37], s[36:37], 2
	s_lshl_b64 s[6:7], s[6:7], 2
	;; [unrolled: 1-line block ×3, first 2 shown]
	v_add_co_ci_u32_e32 v15, vcc_lo, s21, v3, vcc_lo
	s_add_u32 s67, s4, s38
	s_addc_u32 s68, s5, s39
	s_add_u32 s69, s8, s38
	v_add_co_u32 v16, vcc_lo, v0, 4
	s_addc_u32 s70, s9, s39
	s_add_u32 s31, s20, s38
	v_add_co_ci_u32_e32 v17, vcc_lo, 0, v15, vcc_lo
	s_addc_u32 s38, s21, s39
	v_add_co_u32 v18, vcc_lo, s31, v4
	v_add_co_ci_u32_e32 v19, vcc_lo, s38, v3, vcc_lo
	s_mov_b32 s31, s43
	s_mul_i32 s28, s12, s60
	s_lshl_b64 s[38:39], s[30:31], 2
	v_add_co_u32 v20, vcc_lo, v18, 4
	s_add_i32 s31, s19, 1
	s_mul_i32 s40, s13, s60
	s_mul_hi_u32 s41, s12, s60
	s_add_u32 s38, s20, s38
	v_add_co_ci_u32_e32 v21, vcc_lo, 0, v19, vcc_lo
	s_addc_u32 s39, s21, s39
	s_add_i32 s41, s41, s40
	s_mov_b32 s40, s28
	v_add_co_u32 v22, vcc_lo, s38, v4
	s_lshl_b64 s[46:47], s[40:41], 2
	v_add_co_ci_u32_e32 v23, vcc_lo, s39, v3, vcc_lo
	s_lshl_b64 s[38:39], s[12:13], 2
	s_lshl_b64 s[40:41], s[26:27], 2
	s_add_u32 s27, s46, s2
	v_ashrrev_i32_e32 v2, 31, v1
	s_addc_u32 s42, s47, s3
	s_add_u32 s46, s20, s27
	s_addc_u32 s47, s21, s42
	s_lshl_b64 s[42:43], s[44:45], 2
	v_lshlrev_b64 v[2:3], 2, v[1:2]
	s_add_u32 s27, s4, s42
	s_addc_u32 s71, s5, s43
	s_add_u32 s72, s8, s42
	s_mul_i32 s42, s13, s44
	s_mul_hi_u32 s45, s12, s44
	s_addc_u32 s13, s9, s43
	s_add_i32 s43, s45, s42
	s_mul_i32 s42, s12, s44
	v_add_co_u32 v24, vcc_lo, s25, v2
	s_lshl_b64 s[42:43], s[42:43], 2
	v_add_co_ci_u32_e32 v25, vcc_lo, s53, v3, vcc_lo
	s_add_u32 s42, s42, s2
	s_addc_u32 s43, s43, s3
	v_add_co_u32 v26, vcc_lo, s46, v2
	s_add_u32 s42, s20, s42
	s_addc_u32 s43, s21, s43
	v_add_co_ci_u32_e32 v27, vcc_lo, s47, v3, vcc_lo
	s_add_u32 s2, s2, s38
	v_add_co_u32 v28, vcc_lo, s42, v2
	s_addc_u32 s3, s3, s39
	s_add_u32 s2, s20, s2
	v_add_co_ci_u32_e32 v29, vcc_lo, s43, v3, vcc_lo
	s_addc_u32 s3, s21, s3
	v_add_co_u32 v30, vcc_lo, s2, v2
	v_cmp_gt_i32_e64 s1, s19, v1
	v_add_co_ci_u32_e32 v31, vcc_lo, s3, v3, vcc_lo
	s_add_i32 s73, s52, 1
	s_sub_u32 s74, 0, s38
	s_mul_hi_i32 s29, s12, s60
	s_subb_u32 s75, 0, s39
	s_branch .LBB0_4
.LBB0_2:                                ;   in Loop: Header=BB0_4 Depth=1
	s_or_b32 exec_lo, exec_lo, s42
.LBB0_3:                                ;   in Loop: Header=BB0_4 Depth=1
	s_add_i32 s15, s15, s24
	s_delay_alu instid0(SALU_CYCLE_1)
	s_cmp_ge_u32 s15, s33
	s_cbranch_scc1 .LBB0_98
.LBB0_4:                                ; =>This Loop Header: Depth=1
                                        ;     Child Loop BB0_8 Depth 2
                                        ;       Child Loop BB0_9 Depth 3
                                        ;     Child Loop BB0_16 Depth 2
                                        ;       Child Loop BB0_17 Depth 3
	;; [unrolled: 2-line block ×12, first 2 shown]
	s_mul_i32 s2, s7, s15
	s_mul_hi_u32 s3, s6, s15
	s_mul_i32 s80, s6, s15
	s_add_i32 s51, s3, s2
	s_mul_i32 s2, s11, s15
	s_mul_hi_u32 s3, s10, s15
	s_mul_i32 s81, s10, s15
	s_add_i32 s50, s3, s2
	;; [unrolled: 4-line block ×3, first 2 shown]
	s_add_u32 s20, s4, s80
	s_addc_u32 s21, s5, s51
	s_mul_i32 s2, s15, s17
	s_mul_hi_u32 s3, s15, s16
	s_add_u32 s42, s8, s81
	s_addc_u32 s43, s9, s50
	s_add_i32 s3, s3, s2
	s_mul_i32 s2, s15, s16
	v_add_co_u32 v2, vcc_lo, v16, s79
	s_lshl_b64 s[2:3], s[2:3], 2
	v_add_co_ci_u32_e32 v3, vcc_lo, s78, v17, vcc_lo
	s_add_u32 s76, s25, s2
	s_addc_u32 s77, s53, s3
	s_and_not1_b32 vcc_lo, exec_lo, s14
	s_mov_b32 s2, -1
	s_cbranch_vccnz .LBB0_11
; %bb.5:                                ;   in Loop: Header=BB0_4 Depth=1
	s_and_saveexec_b32 s46, s0
	s_cbranch_execz .LBB0_10
; %bb.6:                                ;   in Loop: Header=BB0_4 Depth=1
	s_lshl_b64 s[2:3], s[22:23], 2
	v_dual_mov_b32 v5, v3 :: v_dual_mov_b32 v4, v2
	s_add_u32 s2, s76, s2
	v_mov_b32_e32 v10, v1
	s_addc_u32 s3, s77, s3
	s_add_u32 s47, s2, -4
	s_addc_u32 s48, s3, -1
	s_mov_b32 s49, 0
	s_branch .LBB0_8
.LBB0_7:                                ;   in Loop: Header=BB0_8 Depth=2
	v_add_nc_u32_e32 v10, s26, v10
	v_add_co_u32 v6, vcc_lo, s47, v6
	v_add_co_ci_u32_e32 v7, vcc_lo, s48, v7, vcc_lo
	s_delay_alu instid0(VALU_DEP_3) | instskip(SKIP_1) | instid1(VALU_DEP_1)
	v_cmp_le_i32_e32 vcc_lo, s52, v10
	v_add_co_u32 v4, s2, v4, s36
	v_add_co_ci_u32_e64 v5, s2, s37, v5, s2
	s_or_b32 s49, vcc_lo, s49
	s_waitcnt vmcnt(0)
	global_store_b32 v[6:7], v11, off
	s_and_not1_b32 exec_lo, exec_lo, s49
	s_cbranch_execz .LBB0_10
.LBB0_8:                                ;   Parent Loop BB0_4 Depth=1
                                        ; =>  This Loop Header: Depth=2
                                        ;       Child Loop BB0_9 Depth 3
	v_mad_i64_i32 v[6:7], null, v10, s12, 0
	s_mov_b64 s[2:3], s[42:43]
	s_mov_b64 s[44:45], s[20:21]
	s_mov_b32 s82, s30
	s_delay_alu instid0(VALU_DEP_1) | instskip(NEXT) | instid1(VALU_DEP_1)
	v_lshlrev_b64 v[6:7], 2, v[6:7]
	v_add_co_u32 v8, vcc_lo, s76, v6
	s_delay_alu instid0(VALU_DEP_2)
	v_add_co_ci_u32_e32 v9, vcc_lo, s77, v7, vcc_lo
	s_and_not1_b32 vcc_lo, exec_lo, s54
	global_load_b32 v11, v[8:9], off
	v_dual_mov_b32 v9, v5 :: v_dual_mov_b32 v8, v4
	s_cbranch_vccnz .LBB0_7
	.p2align	6
.LBB0_9:                                ;   Parent Loop BB0_4 Depth=1
                                        ;     Parent Loop BB0_8 Depth=2
                                        ; =>    This Inner Loop Header: Depth=3
	global_load_b32 v12, v32, s[2:3]
	global_load_b32 v13, v[8:9], off
	global_load_b32 v14, v32, s[44:45]
	s_add_i32 s82, s82, -1
	s_add_u32 s44, s44, 4
	s_addc_u32 s45, s45, 0
	s_add_u32 s2, s2, 4
	s_addc_u32 s3, s3, 0
	s_cmp_eq_u32 s82, 0
	s_waitcnt vmcnt(1)
	v_dual_mul_f32 v33, v12, v13 :: v_dual_mul_f32 v12, v11, v12
	s_waitcnt vmcnt(0)
	s_delay_alu instid0(VALU_DEP_1) | instskip(NEXT) | instid1(VALU_DEP_2)
	v_fmac_f32_e32 v33, v11, v14
	v_fma_f32 v11, v14, v13, -v12
	global_store_b32 v[8:9], v33, off offset:-4
	v_add_co_u32 v8, vcc_lo, v8, 4
	v_add_co_ci_u32_e32 v9, vcc_lo, 0, v9, vcc_lo
	s_cbranch_scc0 .LBB0_9
	s_branch .LBB0_7
.LBB0_10:                               ;   in Loop: Header=BB0_4 Depth=1
	s_or_b32 exec_lo, exec_lo, s46
	s_mov_b32 s2, 0
.LBB0_11:                               ;   in Loop: Header=BB0_4 Depth=1
	s_delay_alu instid0(SALU_CYCLE_1)
	s_and_not1_b32 vcc_lo, exec_lo, s2
	s_cbranch_vccnz .LBB0_3
; %bb.12:                               ;   in Loop: Header=BB0_4 Depth=1
	s_add_u32 s44, s67, s80
	s_addc_u32 s45, s68, s51
	s_add_u32 s46, s69, s81
	s_addc_u32 s47, s70, s50
	s_and_not1_b32 vcc_lo, exec_lo, s18
	s_mov_b32 s2, -1
	s_cbranch_vccnz .LBB0_19
; %bb.13:                               ;   in Loop: Header=BB0_4 Depth=1
	s_and_saveexec_b32 s82, s0
	s_cbranch_execz .LBB0_18
; %bb.14:                               ;   in Loop: Header=BB0_4 Depth=1
	s_lshl_b64 s[2:3], s[22:23], 2
	v_add_co_u32 v4, vcc_lo, v20, s79
	v_add_co_ci_u32_e32 v5, vcc_lo, s78, v21, vcc_lo
	s_add_u32 s2, s76, s2
	v_mov_b32_e32 v10, v1
	s_addc_u32 s3, s77, s3
	s_add_u32 s83, s2, -4
	s_addc_u32 s84, s3, -1
	s_mov_b32 s85, 0
	s_branch .LBB0_16
.LBB0_15:                               ;   in Loop: Header=BB0_16 Depth=2
	v_add_nc_u32_e32 v10, s26, v10
	v_add_co_u32 v6, vcc_lo, s76, v6
	v_add_co_ci_u32_e32 v7, vcc_lo, s77, v7, vcc_lo
	s_delay_alu instid0(VALU_DEP_3) | instskip(SKIP_1) | instid1(VALU_DEP_1)
	v_cmp_le_i32_e32 vcc_lo, s52, v10
	v_add_co_u32 v4, s2, v4, s36
	v_add_co_ci_u32_e64 v5, s2, s37, v5, s2
	s_or_b32 s85, vcc_lo, s85
	s_waitcnt vmcnt(0)
	global_store_b32 v[6:7], v11, off
	s_and_not1_b32 exec_lo, exec_lo, s85
	s_cbranch_execz .LBB0_18
.LBB0_16:                               ;   Parent Loop BB0_4 Depth=1
                                        ; =>  This Loop Header: Depth=2
                                        ;       Child Loop BB0_17 Depth 3
	v_mad_i64_i32 v[6:7], null, v10, s12, 0
	s_mov_b64 s[2:3], s[46:47]
	s_mov_b64 s[48:49], s[44:45]
	s_mov_b32 s86, s30
	s_delay_alu instid0(VALU_DEP_1) | instskip(NEXT) | instid1(VALU_DEP_1)
	v_lshlrev_b64 v[6:7], 2, v[6:7]
	v_add_co_u32 v8, vcc_lo, s83, v6
	s_delay_alu instid0(VALU_DEP_2)
	v_add_co_ci_u32_e32 v9, vcc_lo, s84, v7, vcc_lo
	s_and_not1_b32 vcc_lo, exec_lo, s54
	global_load_b32 v11, v[8:9], off
	v_dual_mov_b32 v9, v5 :: v_dual_mov_b32 v8, v4
	s_cbranch_vccnz .LBB0_15
	.p2align	6
.LBB0_17:                               ;   Parent Loop BB0_4 Depth=1
                                        ;     Parent Loop BB0_16 Depth=2
                                        ; =>    This Inner Loop Header: Depth=3
	global_load_b32 v14, v32, s[2:3]
	global_load_b32 v33, v[8:9], off offset:-4
	global_load_b32 v34, v32, s[48:49]
	s_waitcnt vmcnt(3)
	v_mov_b32_e32 v35, v11
	v_add_co_u32 v12, vcc_lo, v8, -4
	v_add_co_ci_u32_e32 v13, vcc_lo, -1, v9, vcc_lo
	s_add_i32 s86, s86, -1
	s_add_u32 s48, s48, -4
	s_addc_u32 s49, s49, -1
	s_add_u32 s2, s2, -4
	s_addc_u32 s3, s3, -1
	s_cmp_eq_u32 s86, 0
	s_waitcnt vmcnt(1)
	v_mul_f32_e32 v36, v14, v33
	s_waitcnt vmcnt(0)
	v_mul_f32_e32 v11, v34, v33
	s_delay_alu instid0(VALU_DEP_2)
	v_fma_f32 v33, v35, v34, -v36
	global_store_b32 v[8:9], v33, off
	v_dual_mov_b32 v8, v12 :: v_dual_fmac_f32 v11, v35, v14
	v_mov_b32_e32 v9, v13
	s_cbranch_scc0 .LBB0_17
	s_branch .LBB0_15
.LBB0_18:                               ;   in Loop: Header=BB0_4 Depth=1
	s_or_b32 exec_lo, exec_lo, s82
	s_mov_b32 s2, 0
.LBB0_19:                               ;   in Loop: Header=BB0_4 Depth=1
	s_delay_alu instid0(SALU_CYCLE_1)
	s_and_not1_b32 vcc_lo, exec_lo, s2
	s_cbranch_vccnz .LBB0_3
; %bb.20:                               ;   in Loop: Header=BB0_4 Depth=1
	s_and_not1_b32 vcc_lo, exec_lo, s55
	s_mov_b32 s2, -1
	s_cbranch_vccnz .LBB0_27
; %bb.21:                               ;   in Loop: Header=BB0_4 Depth=1
	s_and_saveexec_b32 s82, s0
	s_cbranch_execz .LBB0_26
; %bb.22:                               ;   in Loop: Header=BB0_4 Depth=1
	v_mov_b32_e32 v8, v1
	s_mov_b32 s83, 0
	s_branch .LBB0_24
.LBB0_23:                               ;   in Loop: Header=BB0_24 Depth=2
	v_add_nc_u32_e32 v8, s26, v8
	v_add_co_u32 v2, s2, v2, s36
	s_delay_alu instid0(VALU_DEP_1) | instskip(NEXT) | instid1(VALU_DEP_3)
	v_add_co_ci_u32_e64 v3, s2, s37, v3, s2
	v_cmp_le_i32_e32 vcc_lo, s52, v8
	s_waitcnt vmcnt(0)
	global_store_b32 v[4:5], v9, off
	s_or_b32 s83, vcc_lo, s83
	s_delay_alu instid0(SALU_CYCLE_1)
	s_and_not1_b32 exec_lo, exec_lo, s83
	s_cbranch_execz .LBB0_26
.LBB0_24:                               ;   Parent Loop BB0_4 Depth=1
                                        ; =>  This Loop Header: Depth=2
                                        ;       Child Loop BB0_25 Depth 3
	s_delay_alu instid0(VALU_DEP_1) | instskip(SKIP_4) | instid1(VALU_DEP_2)
	v_mad_i64_i32 v[4:5], null, v8, s12, 0
	v_dual_mov_b32 v7, v3 :: v_dual_mov_b32 v6, v2
	s_mov_b32 s84, s30
	s_mov_b64 s[2:3], s[20:21]
	s_mov_b64 s[48:49], s[42:43]
	v_lshlrev_b64 v[4:5], 2, v[4:5]
	s_delay_alu instid0(VALU_DEP_1) | instskip(NEXT) | instid1(VALU_DEP_2)
	v_add_co_u32 v4, vcc_lo, s76, v4
	v_add_co_ci_u32_e32 v5, vcc_lo, s77, v5, vcc_lo
	s_and_not1_b32 vcc_lo, exec_lo, s54
	global_load_b32 v9, v[4:5], off
	s_cbranch_vccnz .LBB0_23
	.p2align	6
.LBB0_25:                               ;   Parent Loop BB0_4 Depth=1
                                        ;     Parent Loop BB0_24 Depth=2
                                        ; =>    This Inner Loop Header: Depth=3
	s_clause 0x1
	global_load_b32 v10, v32, s[48:49]
	global_load_b32 v11, v32, s[2:3]
	global_load_b32 v12, v[6:7], off
	s_waitcnt vmcnt(3)
	v_mov_b32_e32 v13, v9
	s_add_u32 s48, s48, 4
	s_addc_u32 s49, s49, 0
	s_add_u32 s2, s2, 4
	s_addc_u32 s3, s3, 0
	s_add_i32 s84, s84, -1
	s_delay_alu instid0(SALU_CYCLE_1) | instskip(SKIP_2) | instid1(VALU_DEP_1)
	s_cmp_eq_u32 s84, 0
	s_waitcnt vmcnt(0)
	v_dual_mul_f32 v14, v13, v10 :: v_dual_mul_f32 v9, v10, v12
	v_fma_f32 v10, v11, v12, -v14
	s_delay_alu instid0(VALU_DEP_2)
	v_fmac_f32_e32 v9, v13, v11
	global_store_b32 v[6:7], v10, off
	v_add_co_u32 v6, vcc_lo, v6, 4
	v_add_co_ci_u32_e32 v7, vcc_lo, 0, v7, vcc_lo
	s_cbranch_scc0 .LBB0_25
	s_branch .LBB0_23
.LBB0_26:                               ;   in Loop: Header=BB0_4 Depth=1
	s_or_b32 exec_lo, exec_lo, s82
	s_mov_b32 s2, 0
.LBB0_27:                               ;   in Loop: Header=BB0_4 Depth=1
	s_delay_alu instid0(SALU_CYCLE_1)
	s_and_not1_b32 vcc_lo, exec_lo, s2
	s_cbranch_vccnz .LBB0_3
; %bb.28:                               ;   in Loop: Header=BB0_4 Depth=1
	s_and_not1_b32 vcc_lo, exec_lo, s56
	s_mov_b32 s2, -1
	s_cbranch_vccnz .LBB0_35
; %bb.29:                               ;   in Loop: Header=BB0_4 Depth=1
	s_and_saveexec_b32 s82, s0
	s_cbranch_execz .LBB0_34
; %bb.30:                               ;   in Loop: Header=BB0_4 Depth=1
	v_add_co_u32 v2, vcc_lo, v22, s79
	v_add_co_ci_u32_e32 v3, vcc_lo, s78, v23, vcc_lo
	v_mov_b32_e32 v8, v1
	s_mov_b32 s83, 0
	s_branch .LBB0_32
.LBB0_31:                               ;   in Loop: Header=BB0_32 Depth=2
	v_add_nc_u32_e32 v8, s26, v8
	v_add_co_u32 v2, s2, v2, s36
	s_delay_alu instid0(VALU_DEP_1) | instskip(NEXT) | instid1(VALU_DEP_3)
	v_add_co_ci_u32_e64 v3, s2, s37, v3, s2
	v_cmp_le_i32_e32 vcc_lo, s52, v8
	s_waitcnt vmcnt(0)
	global_store_b32 v[4:5], v9, off
	s_or_b32 s83, vcc_lo, s83
	s_delay_alu instid0(SALU_CYCLE_1)
	s_and_not1_b32 exec_lo, exec_lo, s83
	s_cbranch_execz .LBB0_34
.LBB0_32:                               ;   Parent Loop BB0_4 Depth=1
                                        ; =>  This Loop Header: Depth=2
                                        ;       Child Loop BB0_33 Depth 3
	s_delay_alu instid0(VALU_DEP_1) | instskip(SKIP_4) | instid1(VALU_DEP_2)
	v_mad_i64_i32 v[4:5], null, v8, s12, 0
	v_dual_mov_b32 v7, v3 :: v_dual_mov_b32 v6, v2
	s_mov_b64 s[2:3], s[46:47]
	s_mov_b64 s[48:49], s[44:45]
	s_mov_b32 s84, s31
	v_lshlrev_b64 v[4:5], 2, v[4:5]
	s_delay_alu instid0(VALU_DEP_1) | instskip(NEXT) | instid1(VALU_DEP_2)
	v_add_co_u32 v4, vcc_lo, s76, v4
	v_add_co_ci_u32_e32 v5, vcc_lo, s77, v5, vcc_lo
	s_and_not1_b32 vcc_lo, exec_lo, s54
	global_load_b32 v9, v[4:5], off
	s_cbranch_vccnz .LBB0_31
	.p2align	6
.LBB0_33:                               ;   Parent Loop BB0_4 Depth=1
                                        ;     Parent Loop BB0_32 Depth=2
                                        ; =>    This Inner Loop Header: Depth=3
	s_clause 0x1
	global_load_b32 v10, v32, s[2:3]
	global_load_b32 v11, v32, s[48:49]
	global_load_b32 v12, v[6:7], off
	s_waitcnt vmcnt(3)
	v_mov_b32_e32 v13, v9
	s_add_i32 s84, s84, -1
	s_add_u32 s48, s48, -4
	s_addc_u32 s49, s49, -1
	s_add_u32 s2, s2, -4
	s_addc_u32 s3, s3, -1
	s_cmp_lt_u32 s84, 3
	s_waitcnt vmcnt(0)
	v_dual_mul_f32 v14, v13, v10 :: v_dual_mul_f32 v9, v10, v12
	s_delay_alu instid0(VALU_DEP_1) | instskip(NEXT) | instid1(VALU_DEP_2)
	v_fma_f32 v10, v11, v12, -v14
	v_fmac_f32_e32 v9, v13, v11
	global_store_b32 v[6:7], v10, off
	v_add_co_u32 v6, vcc_lo, v6, -4
	v_add_co_ci_u32_e32 v7, vcc_lo, -1, v7, vcc_lo
	s_cbranch_scc0 .LBB0_33
	s_branch .LBB0_31
.LBB0_34:                               ;   in Loop: Header=BB0_4 Depth=1
	s_or_b32 exec_lo, exec_lo, s82
	s_mov_b32 s2, 0
.LBB0_35:                               ;   in Loop: Header=BB0_4 Depth=1
	s_delay_alu instid0(SALU_CYCLE_1)
	s_and_not1_b32 vcc_lo, exec_lo, s2
	s_cbranch_vccnz .LBB0_3
; %bb.36:                               ;   in Loop: Header=BB0_4 Depth=1
	s_and_not1_b32 vcc_lo, exec_lo, s57
	s_mov_b32 s2, -1
	s_cbranch_vccnz .LBB0_43
; %bb.37:                               ;   in Loop: Header=BB0_4 Depth=1
	s_and_saveexec_b32 s82, s0
	s_cbranch_execz .LBB0_42
; %bb.38:                               ;   in Loop: Header=BB0_4 Depth=1
	s_lshl_b64 s[2:3], s[22:23], 2
	v_add_co_u32 v2, vcc_lo, v0, s79
	v_add_co_ci_u32_e32 v3, vcc_lo, s78, v15, vcc_lo
	s_add_u32 s2, s76, s2
	v_mov_b32_e32 v8, v1
	s_addc_u32 s3, s77, s3
	s_add_u32 s83, s2, -4
	s_addc_u32 s84, s3, -1
	s_mov_b32 s85, 0
	s_branch .LBB0_40
.LBB0_39:                               ;   in Loop: Header=BB0_40 Depth=2
	v_add_nc_u32_e32 v8, s26, v8
	v_add_co_u32 v2, s2, v2, s36
	s_delay_alu instid0(VALU_DEP_1) | instskip(NEXT) | instid1(VALU_DEP_3)
	v_add_co_ci_u32_e64 v3, s2, s37, v3, s2
	v_cmp_le_i32_e32 vcc_lo, s52, v8
	s_waitcnt vmcnt(0)
	global_store_b32 v[4:5], v9, off
	s_or_b32 s85, vcc_lo, s85
	s_delay_alu instid0(SALU_CYCLE_1)
	s_and_not1_b32 exec_lo, exec_lo, s85
	s_cbranch_execz .LBB0_42
.LBB0_40:                               ;   Parent Loop BB0_4 Depth=1
                                        ; =>  This Loop Header: Depth=2
                                        ;       Child Loop BB0_41 Depth 3
	v_mad_i64_i32 v[4:5], null, v8, s12, 0
	v_dual_mov_b32 v7, v3 :: v_dual_mov_b32 v6, v2
	s_mov_b64 s[2:3], s[42:43]
	s_mov_b64 s[48:49], s[20:21]
	s_mov_b32 s86, s30
	s_delay_alu instid0(VALU_DEP_2) | instskip(NEXT) | instid1(VALU_DEP_1)
	v_lshlrev_b64 v[4:5], 2, v[4:5]
	v_add_co_u32 v4, vcc_lo, s83, v4
	s_delay_alu instid0(VALU_DEP_2)
	v_add_co_ci_u32_e32 v5, vcc_lo, s84, v5, vcc_lo
	s_and_not1_b32 vcc_lo, exec_lo, s54
	global_load_b32 v9, v[4:5], off
	s_cbranch_vccnz .LBB0_39
	.p2align	6
.LBB0_41:                               ;   Parent Loop BB0_4 Depth=1
                                        ;     Parent Loop BB0_40 Depth=2
                                        ; =>    This Inner Loop Header: Depth=3
	global_load_b32 v10, v[6:7], off
	s_clause 0x1
	global_load_b32 v11, v32, s[48:49]
	global_load_b32 v12, v32, s[2:3]
	s_add_i32 s86, s86, -1
	s_add_u32 s48, s48, 4
	s_addc_u32 s49, s49, 0
	s_add_u32 s2, s2, 4
	s_addc_u32 s3, s3, 0
	s_cmp_eq_u32 s86, 0
	s_waitcnt vmcnt(1)
	v_mul_f32_e32 v13, v11, v10
	s_waitcnt vmcnt(0)
	s_delay_alu instid0(VALU_DEP_1) | instskip(NEXT) | instid1(VALU_DEP_1)
	v_dual_mul_f32 v10, v12, v10 :: v_dual_fmac_f32 v13, v9, v12
	v_fma_f32 v9, v9, v11, -v10
	global_store_b32 v[6:7], v13, off
	v_add_co_u32 v6, vcc_lo, v6, 4
	v_add_co_ci_u32_e32 v7, vcc_lo, 0, v7, vcc_lo
	s_cbranch_scc0 .LBB0_41
	s_branch .LBB0_39
.LBB0_42:                               ;   in Loop: Header=BB0_4 Depth=1
	s_or_b32 exec_lo, exec_lo, s82
	s_mov_b32 s2, 0
.LBB0_43:                               ;   in Loop: Header=BB0_4 Depth=1
	s_delay_alu instid0(SALU_CYCLE_1)
	s_and_not1_b32 vcc_lo, exec_lo, s2
	s_cbranch_vccnz .LBB0_3
; %bb.44:                               ;   in Loop: Header=BB0_4 Depth=1
	s_and_not1_b32 vcc_lo, exec_lo, s58
	s_mov_b32 s2, -1
	s_cbranch_vccnz .LBB0_51
; %bb.45:                               ;   in Loop: Header=BB0_4 Depth=1
	s_and_saveexec_b32 s82, s0
	s_cbranch_execz .LBB0_50
; %bb.46:                               ;   in Loop: Header=BB0_4 Depth=1
	s_lshl_b64 s[2:3], s[22:23], 2
	v_add_co_u32 v2, vcc_lo, v18, s79
	v_add_co_ci_u32_e32 v3, vcc_lo, s78, v19, vcc_lo
	s_add_u32 s2, s76, s2
	v_mov_b32_e32 v8, v1
	s_addc_u32 s3, s77, s3
	s_add_u32 s83, s2, -4
	s_addc_u32 s84, s3, -1
	s_mov_b32 s85, 0
	s_branch .LBB0_48
.LBB0_47:                               ;   in Loop: Header=BB0_48 Depth=2
	v_add_nc_u32_e32 v8, s26, v8
	v_add_co_u32 v2, s2, v2, s36
	s_delay_alu instid0(VALU_DEP_1) | instskip(NEXT) | instid1(VALU_DEP_3)
	v_add_co_ci_u32_e64 v3, s2, s37, v3, s2
	v_cmp_le_i32_e32 vcc_lo, s52, v8
	s_waitcnt vmcnt(0)
	global_store_b32 v[4:5], v9, off
	s_or_b32 s85, vcc_lo, s85
	s_delay_alu instid0(SALU_CYCLE_1)
	s_and_not1_b32 exec_lo, exec_lo, s85
	s_cbranch_execz .LBB0_50
.LBB0_48:                               ;   Parent Loop BB0_4 Depth=1
                                        ; =>  This Loop Header: Depth=2
                                        ;       Child Loop BB0_49 Depth 3
	v_mad_i64_i32 v[4:5], null, v8, s12, 0
	v_dual_mov_b32 v7, v3 :: v_dual_mov_b32 v6, v2
	s_mov_b64 s[2:3], s[46:47]
	s_mov_b64 s[48:49], s[44:45]
	s_mov_b32 s86, s30
	s_delay_alu instid0(VALU_DEP_2) | instskip(NEXT) | instid1(VALU_DEP_1)
	v_lshlrev_b64 v[4:5], 2, v[4:5]
	v_add_co_u32 v4, vcc_lo, s83, v4
	s_delay_alu instid0(VALU_DEP_2)
	v_add_co_ci_u32_e32 v5, vcc_lo, s84, v5, vcc_lo
	s_and_not1_b32 vcc_lo, exec_lo, s54
	global_load_b32 v9, v[4:5], off
	s_cbranch_vccnz .LBB0_47
	.p2align	6
.LBB0_49:                               ;   Parent Loop BB0_4 Depth=1
                                        ;     Parent Loop BB0_48 Depth=2
                                        ; =>    This Inner Loop Header: Depth=3
	global_load_b32 v10, v[6:7], off
	s_clause 0x1
	global_load_b32 v11, v32, s[48:49]
	global_load_b32 v12, v32, s[2:3]
	s_add_i32 s86, s86, -1
	s_add_u32 s48, s48, -4
	s_addc_u32 s49, s49, -1
	s_add_u32 s2, s2, -4
	s_addc_u32 s3, s3, -1
	s_cmp_eq_u32 s86, 0
	s_waitcnt vmcnt(1)
	v_mul_f32_e32 v13, v11, v10
	s_waitcnt vmcnt(0)
	s_delay_alu instid0(VALU_DEP_1) | instskip(NEXT) | instid1(VALU_DEP_1)
	v_dual_mul_f32 v10, v12, v10 :: v_dual_fmac_f32 v13, v9, v12
	v_fma_f32 v9, v9, v11, -v10
	global_store_b32 v[6:7], v13, off
	v_add_co_u32 v6, vcc_lo, v6, -4
	v_add_co_ci_u32_e32 v7, vcc_lo, -1, v7, vcc_lo
	s_cbranch_scc0 .LBB0_49
	s_branch .LBB0_47
.LBB0_50:                               ;   in Loop: Header=BB0_4 Depth=1
	s_or_b32 exec_lo, exec_lo, s82
	s_mov_b32 s2, 0
.LBB0_51:                               ;   in Loop: Header=BB0_4 Depth=1
	s_delay_alu instid0(SALU_CYCLE_1)
	s_and_not1_b32 vcc_lo, exec_lo, s2
	s_cbranch_vccnz .LBB0_3
; %bb.52:                               ;   in Loop: Header=BB0_4 Depth=1
	v_add_co_u32 v2, vcc_lo, v24, s79
	v_add_co_ci_u32_e32 v3, vcc_lo, s78, v25, vcc_lo
	s_and_not1_b32 vcc_lo, exec_lo, s59
	s_mov_b32 s2, -1
	s_cbranch_vccnz .LBB0_59
; %bb.53:                               ;   in Loop: Header=BB0_4 Depth=1
	s_and_saveexec_b32 s46, s1
	s_cbranch_execz .LBB0_58
; %bb.54:                               ;   in Loop: Header=BB0_4 Depth=1
	s_lshl_b64 s[2:3], s[28:29], 2
	v_dual_mov_b32 v5, v3 :: v_dual_mov_b32 v4, v2
	v_mov_b32_e32 v6, v1
	s_add_u32 s47, s76, s2
	s_addc_u32 s48, s77, s3
	s_mov_b32 s49, 0
	s_branch .LBB0_56
.LBB0_55:                               ;   in Loop: Header=BB0_56 Depth=2
	v_add_nc_u32_e32 v6, s26, v6
	v_add_co_u32 v7, vcc_lo, s47, v7
	v_add_co_ci_u32_e32 v8, vcc_lo, s48, v8, vcc_lo
	s_delay_alu instid0(VALU_DEP_3) | instskip(SKIP_1) | instid1(VALU_DEP_1)
	v_cmp_le_i32_e32 vcc_lo, s19, v6
	v_add_co_u32 v4, s2, v4, s40
	v_add_co_ci_u32_e64 v5, s2, s41, v5, s2
	s_or_b32 s49, vcc_lo, s49
	s_waitcnt vmcnt(0)
	global_store_b32 v[7:8], v11, off
	s_and_not1_b32 exec_lo, exec_lo, s49
	s_cbranch_execz .LBB0_58
.LBB0_56:                               ;   Parent Loop BB0_4 Depth=1
                                        ; =>  This Loop Header: Depth=2
                                        ;       Child Loop BB0_57 Depth 3
	v_ashrrev_i32_e32 v7, 31, v6
	s_mov_b64 s[2:3], s[42:43]
	s_mov_b64 s[44:45], s[20:21]
	s_mov_b32 s82, s60
	s_delay_alu instid0(VALU_DEP_1) | instskip(NEXT) | instid1(VALU_DEP_1)
	v_lshlrev_b64 v[7:8], 2, v[6:7]
	v_add_co_u32 v9, vcc_lo, s76, v7
	s_delay_alu instid0(VALU_DEP_2)
	v_add_co_ci_u32_e32 v10, vcc_lo, s77, v8, vcc_lo
	s_and_not1_b32 vcc_lo, exec_lo, s62
	global_load_b32 v11, v[9:10], off
	v_dual_mov_b32 v10, v5 :: v_dual_mov_b32 v9, v4
	s_cbranch_vccnz .LBB0_55
	.p2align	6
.LBB0_57:                               ;   Parent Loop BB0_4 Depth=1
                                        ;     Parent Loop BB0_56 Depth=2
                                        ; =>    This Inner Loop Header: Depth=3
	s_delay_alu instid0(VALU_DEP_1) | instskip(NEXT) | instid1(VALU_DEP_2)
	v_add_co_u32 v12, vcc_lo, v9, s38
	v_add_co_ci_u32_e32 v13, vcc_lo, s39, v10, vcc_lo
	s_add_i32 s82, s82, -1
	global_load_b32 v14, v32, s[2:3]
	global_load_b32 v33, v[12:13], off
	global_load_b32 v34, v32, s[44:45]
	s_add_u32 s44, s44, 4
	s_addc_u32 s45, s45, 0
	s_add_u32 s2, s2, 4
	s_addc_u32 s3, s3, 0
	s_cmp_eq_u32 s82, 0
	s_waitcnt vmcnt(1)
	v_dual_mul_f32 v35, v14, v33 :: v_dual_mul_f32 v14, v11, v14
	s_waitcnt vmcnt(0)
	s_delay_alu instid0(VALU_DEP_1) | instskip(NEXT) | instid1(VALU_DEP_2)
	v_fmac_f32_e32 v35, v11, v34
	v_fma_f32 v11, v34, v33, -v14
	global_store_b32 v[9:10], v35, off
	v_dual_mov_b32 v9, v12 :: v_dual_mov_b32 v10, v13
	s_cbranch_scc0 .LBB0_57
	s_branch .LBB0_55
.LBB0_58:                               ;   in Loop: Header=BB0_4 Depth=1
	s_or_b32 exec_lo, exec_lo, s46
	s_mov_b32 s2, 0
.LBB0_59:                               ;   in Loop: Header=BB0_4 Depth=1
	s_delay_alu instid0(SALU_CYCLE_1)
	s_and_not1_b32 vcc_lo, exec_lo, s2
	s_cbranch_vccnz .LBB0_3
; %bb.60:                               ;   in Loop: Header=BB0_4 Depth=1
	v_add_co_u32 v4, vcc_lo, v28, s79
	v_add_co_ci_u32_e32 v5, vcc_lo, s78, v29, vcc_lo
	v_add_co_u32 v6, vcc_lo, v26, s79
	s_add_u32 s44, s27, s80
	v_add_co_ci_u32_e32 v7, vcc_lo, s78, v27, vcc_lo
	s_addc_u32 s45, s71, s51
	s_add_u32 s46, s72, s81
	s_addc_u32 s47, s13, s50
	s_and_not1_b32 vcc_lo, exec_lo, s61
	s_mov_b32 s2, -1
	s_cbranch_vccnz .LBB0_68
; %bb.61:                               ;   in Loop: Header=BB0_4 Depth=1
	s_and_saveexec_b32 s80, s1
	s_cbranch_execz .LBB0_67
; %bb.62:                               ;   in Loop: Header=BB0_4 Depth=1
	s_lshl_b64 s[2:3], s[28:29], 2
	v_dual_mov_b32 v9, v5 :: v_dual_mov_b32 v8, v4
	v_dual_mov_b32 v11, v7 :: v_dual_mov_b32 v10, v6
	v_mov_b32_e32 v12, v1
	s_add_u32 s81, s76, s2
	s_addc_u32 s82, s77, s3
	s_mov_b32 s83, 0
	s_branch .LBB0_64
.LBB0_63:                               ;   in Loop: Header=BB0_64 Depth=2
	v_add_co_u32 v13, vcc_lo, s76, v13
	v_add_nc_u32_e32 v12, s26, v12
	v_add_co_ci_u32_e32 v14, vcc_lo, s77, v14, vcc_lo
	v_add_co_u32 v10, vcc_lo, v10, s40
	v_add_co_ci_u32_e32 v11, vcc_lo, s41, v11, vcc_lo
	s_delay_alu instid0(VALU_DEP_4) | instskip(SKIP_1) | instid1(VALU_DEP_1)
	v_cmp_le_i32_e32 vcc_lo, s19, v12
	v_add_co_u32 v8, s2, v8, s40
	v_add_co_ci_u32_e64 v9, s2, s41, v9, s2
	s_or_b32 s83, vcc_lo, s83
	s_waitcnt vmcnt(0)
	global_store_b32 v[13:14], v33, off
	s_and_not1_b32 exec_lo, exec_lo, s83
	s_cbranch_execz .LBB0_67
.LBB0_64:                               ;   Parent Loop BB0_4 Depth=1
                                        ; =>  This Loop Header: Depth=2
                                        ;       Child Loop BB0_66 Depth 3
	v_ashrrev_i32_e32 v13, 31, v12
	s_delay_alu instid0(VALU_DEP_1) | instskip(NEXT) | instid1(VALU_DEP_1)
	v_lshlrev_b64 v[13:14], 2, v[12:13]
	v_add_co_u32 v33, vcc_lo, s81, v13
	s_delay_alu instid0(VALU_DEP_2)
	v_add_co_ci_u32_e32 v34, vcc_lo, s82, v14, vcc_lo
	s_and_not1_b32 vcc_lo, exec_lo, s62
	global_load_b32 v33, v[33:34], off
	s_cbranch_vccnz .LBB0_63
; %bb.65:                               ;   in Loop: Header=BB0_64 Depth=2
	s_mov_b64 s[2:3], 0
	s_mov_b64 s[48:49], s[46:47]
	;; [unrolled: 1-line block ×3, first 2 shown]
	s_mov_b32 s84, s60
	.p2align	6
.LBB0_66:                               ;   Parent Loop BB0_4 Depth=1
                                        ;     Parent Loop BB0_64 Depth=2
                                        ; =>    This Inner Loop Header: Depth=3
	v_add_co_u32 v34, vcc_lo, v8, s2
	v_add_co_ci_u32_e32 v35, vcc_lo, s3, v9, vcc_lo
	s_waitcnt vmcnt(0)
	v_mov_b32_e32 v39, v33
	s_clause 0x1
	global_load_b32 v36, v32, s[50:51]
	global_load_b32 v37, v32, s[48:49]
	global_load_b32 v38, v[34:35], off
	v_add_co_u32 v34, vcc_lo, v10, s2
	s_add_i32 s84, s84, -1
	s_sub_u32 s2, s2, s38
	v_add_co_ci_u32_e32 v35, vcc_lo, s3, v11, vcc_lo
	s_subb_u32 s3, s3, s39
	s_add_u32 s50, s50, -4
	s_addc_u32 s51, s51, -1
	s_add_u32 s48, s48, -4
	s_addc_u32 s49, s49, -1
	s_cmp_eq_u32 s84, 0
	s_waitcnt vmcnt(0)
	v_mul_f32_e32 v33, v36, v38
	s_delay_alu instid0(VALU_DEP_1) | instskip(NEXT) | instid1(VALU_DEP_1)
	v_dual_mul_f32 v40, v37, v38 :: v_dual_fmac_f32 v33, v39, v37
	v_fma_f32 v36, v39, v36, -v40
	global_store_b32 v[34:35], v36, off
	s_cbranch_scc0 .LBB0_66
	s_branch .LBB0_63
.LBB0_67:                               ;   in Loop: Header=BB0_4 Depth=1
	s_or_b32 exec_lo, exec_lo, s80
	s_mov_b32 s2, 0
.LBB0_68:                               ;   in Loop: Header=BB0_4 Depth=1
	s_delay_alu instid0(SALU_CYCLE_1)
	s_and_not1_b32 vcc_lo, exec_lo, s2
	s_cbranch_vccnz .LBB0_3
; %bb.69:                               ;   in Loop: Header=BB0_4 Depth=1
	s_and_not1_b32 vcc_lo, exec_lo, s63
	s_mov_b32 s2, -1
	s_cbranch_vccnz .LBB0_76
; %bb.70:                               ;   in Loop: Header=BB0_4 Depth=1
	s_and_saveexec_b32 s50, s1
	s_cbranch_execz .LBB0_75
; %bb.71:                               ;   in Loop: Header=BB0_4 Depth=1
	v_add_co_u32 v8, vcc_lo, v30, s79
	v_add_co_ci_u32_e32 v9, vcc_lo, s78, v31, vcc_lo
	v_mov_b32_e32 v10, v1
	s_mov_b32 s51, 0
	s_branch .LBB0_73
.LBB0_72:                               ;   in Loop: Header=BB0_73 Depth=2
	v_add_nc_u32_e32 v10, s26, v10
	v_add_co_u32 v8, s2, v8, s40
	s_delay_alu instid0(VALU_DEP_1) | instskip(NEXT) | instid1(VALU_DEP_3)
	v_add_co_ci_u32_e64 v9, s2, s41, v9, s2
	v_cmp_le_i32_e32 vcc_lo, s19, v10
	s_waitcnt vmcnt(0)
	global_store_b32 v[11:12], v33, off
	s_or_b32 s51, vcc_lo, s51
	s_delay_alu instid0(SALU_CYCLE_1)
	s_and_not1_b32 exec_lo, exec_lo, s51
	s_cbranch_execz .LBB0_75
.LBB0_73:                               ;   Parent Loop BB0_4 Depth=1
                                        ; =>  This Loop Header: Depth=2
                                        ;       Child Loop BB0_74 Depth 3
	s_delay_alu instid0(VALU_DEP_1) | instskip(SKIP_3) | instid1(VALU_DEP_2)
	v_ashrrev_i32_e32 v11, 31, v10
	v_dual_mov_b32 v14, v9 :: v_dual_mov_b32 v13, v8
	s_mov_b32 s78, s60
	s_mov_b64 s[2:3], s[20:21]
	v_lshlrev_b64 v[11:12], 2, v[10:11]
	s_mov_b64 s[48:49], s[42:43]
	s_delay_alu instid0(VALU_DEP_1) | instskip(NEXT) | instid1(VALU_DEP_2)
	v_add_co_u32 v11, vcc_lo, s76, v11
	v_add_co_ci_u32_e32 v12, vcc_lo, s77, v12, vcc_lo
	s_and_not1_b32 vcc_lo, exec_lo, s62
	global_load_b32 v33, v[11:12], off
	s_cbranch_vccnz .LBB0_72
	.p2align	6
.LBB0_74:                               ;   Parent Loop BB0_4 Depth=1
                                        ;     Parent Loop BB0_73 Depth=2
                                        ; =>    This Inner Loop Header: Depth=3
	s_clause 0x1
	global_load_b32 v34, v32, s[48:49]
	global_load_b32 v35, v32, s[2:3]
	global_load_b32 v36, v[13:14], off
	s_waitcnt vmcnt(3)
	v_mov_b32_e32 v37, v33
	s_add_u32 s48, s48, 4
	s_addc_u32 s49, s49, 0
	s_add_u32 s2, s2, 4
	s_addc_u32 s3, s3, 0
	s_add_i32 s78, s78, -1
	s_delay_alu instid0(SALU_CYCLE_1) | instskip(SKIP_2) | instid1(VALU_DEP_1)
	s_cmp_eq_u32 s78, 0
	s_waitcnt vmcnt(0)
	v_dual_mul_f32 v38, v37, v34 :: v_dual_mul_f32 v33, v34, v36
	v_fma_f32 v34, v35, v36, -v38
	s_delay_alu instid0(VALU_DEP_2)
	v_fmac_f32_e32 v33, v37, v35
	global_store_b32 v[13:14], v34, off
	v_add_co_u32 v13, vcc_lo, v13, s38
	v_add_co_ci_u32_e32 v14, vcc_lo, s39, v14, vcc_lo
	s_cbranch_scc0 .LBB0_74
	s_branch .LBB0_72
.LBB0_75:                               ;   in Loop: Header=BB0_4 Depth=1
	s_or_b32 exec_lo, exec_lo, s50
	s_mov_b32 s2, 0
.LBB0_76:                               ;   in Loop: Header=BB0_4 Depth=1
	s_delay_alu instid0(SALU_CYCLE_1)
	s_and_not1_b32 vcc_lo, exec_lo, s2
	s_cbranch_vccnz .LBB0_3
; %bb.77:                               ;   in Loop: Header=BB0_4 Depth=1
	s_and_not1_b32 vcc_lo, exec_lo, s64
	s_mov_b32 s2, -1
	s_cbranch_vccnz .LBB0_84
; %bb.78:                               ;   in Loop: Header=BB0_4 Depth=1
	s_and_saveexec_b32 s50, s1
	s_cbranch_execz .LBB0_83
; %bb.79:                               ;   in Loop: Header=BB0_4 Depth=1
	v_mov_b32_e32 v8, v1
	s_mov_b32 s51, 0
	s_branch .LBB0_81
.LBB0_80:                               ;   in Loop: Header=BB0_81 Depth=2
	v_add_nc_u32_e32 v8, s26, v8
	v_add_co_u32 v6, s2, v6, s40
	s_delay_alu instid0(VALU_DEP_1) | instskip(NEXT) | instid1(VALU_DEP_3)
	v_add_co_ci_u32_e64 v7, s2, s41, v7, s2
	v_cmp_le_i32_e32 vcc_lo, s19, v8
	s_waitcnt vmcnt(0)
	global_store_b32 v[9:10], v13, off
	s_or_b32 s51, vcc_lo, s51
	s_delay_alu instid0(SALU_CYCLE_1)
	s_and_not1_b32 exec_lo, exec_lo, s51
	s_cbranch_execz .LBB0_83
.LBB0_81:                               ;   Parent Loop BB0_4 Depth=1
                                        ; =>  This Loop Header: Depth=2
                                        ;       Child Loop BB0_82 Depth 3
	s_delay_alu instid0(VALU_DEP_1) | instskip(SKIP_3) | instid1(VALU_DEP_2)
	v_ashrrev_i32_e32 v9, 31, v8
	v_dual_mov_b32 v12, v7 :: v_dual_mov_b32 v11, v6
	s_mov_b64 s[2:3], s[46:47]
	s_mov_b64 s[48:49], s[44:45]
	v_lshlrev_b64 v[9:10], 2, v[8:9]
	s_mov_b32 s78, s73
	s_delay_alu instid0(VALU_DEP_1) | instskip(NEXT) | instid1(VALU_DEP_2)
	v_add_co_u32 v9, vcc_lo, s76, v9
	v_add_co_ci_u32_e32 v10, vcc_lo, s77, v10, vcc_lo
	s_and_not1_b32 vcc_lo, exec_lo, s62
	global_load_b32 v13, v[9:10], off
	s_cbranch_vccnz .LBB0_80
	.p2align	6
.LBB0_82:                               ;   Parent Loop BB0_4 Depth=1
                                        ;     Parent Loop BB0_81 Depth=2
                                        ; =>    This Inner Loop Header: Depth=3
	s_clause 0x1
	global_load_b32 v14, v32, s[2:3]
	global_load_b32 v33, v32, s[48:49]
	global_load_b32 v34, v[11:12], off
	s_waitcnt vmcnt(3)
	v_mov_b32_e32 v35, v13
	s_add_i32 s78, s78, -1
	s_add_u32 s48, s48, -4
	s_addc_u32 s49, s49, -1
	s_add_u32 s2, s2, -4
	s_addc_u32 s3, s3, -1
	s_cmp_lt_u32 s78, 3
	s_waitcnt vmcnt(2)
	v_mul_f32_e32 v36, v35, v14
	s_waitcnt vmcnt(0)
	v_mul_f32_e32 v13, v14, v34
	s_delay_alu instid0(VALU_DEP_2) | instskip(NEXT) | instid1(VALU_DEP_2)
	v_fma_f32 v14, v33, v34, -v36
	v_fmac_f32_e32 v13, v35, v33
	global_store_b32 v[11:12], v14, off
	v_add_co_u32 v11, vcc_lo, v11, s74
	v_add_co_ci_u32_e32 v12, vcc_lo, s75, v12, vcc_lo
	s_cbranch_scc0 .LBB0_82
	s_branch .LBB0_80
.LBB0_83:                               ;   in Loop: Header=BB0_4 Depth=1
	s_or_b32 exec_lo, exec_lo, s50
	s_mov_b32 s2, 0
.LBB0_84:                               ;   in Loop: Header=BB0_4 Depth=1
	s_delay_alu instid0(SALU_CYCLE_1)
	s_and_not1_b32 vcc_lo, exec_lo, s2
	s_cbranch_vccnz .LBB0_3
; %bb.85:                               ;   in Loop: Header=BB0_4 Depth=1
	s_and_not1_b32 vcc_lo, exec_lo, s65
	s_mov_b32 s2, -1
	s_cbranch_vccnz .LBB0_92
; %bb.86:                               ;   in Loop: Header=BB0_4 Depth=1
	s_and_saveexec_b32 s50, s1
	s_cbranch_execz .LBB0_91
; %bb.87:                               ;   in Loop: Header=BB0_4 Depth=1
	s_lshl_b64 s[2:3], s[28:29], 2
	v_mov_b32_e32 v6, v1
	s_add_u32 s51, s76, s2
	s_addc_u32 s78, s77, s3
	s_mov_b32 s79, 0
	s_branch .LBB0_89
.LBB0_88:                               ;   in Loop: Header=BB0_89 Depth=2
	v_add_nc_u32_e32 v6, s26, v6
	v_add_co_u32 v2, s2, v2, s40
	s_delay_alu instid0(VALU_DEP_1) | instskip(NEXT) | instid1(VALU_DEP_3)
	v_add_co_ci_u32_e64 v3, s2, s41, v3, s2
	v_cmp_le_i32_e32 vcc_lo, s19, v6
	s_waitcnt vmcnt(0)
	global_store_b32 v[7:8], v11, off
	s_or_b32 s79, vcc_lo, s79
	s_delay_alu instid0(SALU_CYCLE_1)
	s_and_not1_b32 exec_lo, exec_lo, s79
	s_cbranch_execz .LBB0_91
.LBB0_89:                               ;   Parent Loop BB0_4 Depth=1
                                        ; =>  This Loop Header: Depth=2
                                        ;       Child Loop BB0_90 Depth 3
	v_ashrrev_i32_e32 v7, 31, v6
	v_dual_mov_b32 v10, v3 :: v_dual_mov_b32 v9, v2
	s_mov_b64 s[2:3], s[42:43]
	s_mov_b64 s[48:49], s[20:21]
	s_delay_alu instid0(VALU_DEP_2) | instskip(SKIP_1) | instid1(VALU_DEP_1)
	v_lshlrev_b64 v[7:8], 2, v[6:7]
	s_mov_b32 s80, s60
	v_add_co_u32 v7, vcc_lo, s51, v7
	s_delay_alu instid0(VALU_DEP_2)
	v_add_co_ci_u32_e32 v8, vcc_lo, s78, v8, vcc_lo
	s_and_not1_b32 vcc_lo, exec_lo, s62
	global_load_b32 v11, v[7:8], off
	s_cbranch_vccnz .LBB0_88
	.p2align	6
.LBB0_90:                               ;   Parent Loop BB0_4 Depth=1
                                        ;     Parent Loop BB0_89 Depth=2
                                        ; =>    This Inner Loop Header: Depth=3
	global_load_b32 v12, v[9:10], off
	s_clause 0x1
	global_load_b32 v13, v32, s[48:49]
	global_load_b32 v14, v32, s[2:3]
	s_add_i32 s80, s80, -1
	s_add_u32 s48, s48, 4
	s_addc_u32 s49, s49, 0
	s_add_u32 s2, s2, 4
	s_addc_u32 s3, s3, 0
	s_cmp_eq_u32 s80, 0
	s_waitcnt vmcnt(1)
	v_mul_f32_e32 v33, v13, v12
	s_waitcnt vmcnt(0)
	s_delay_alu instid0(VALU_DEP_1) | instskip(NEXT) | instid1(VALU_DEP_1)
	v_dual_mul_f32 v12, v14, v12 :: v_dual_fmac_f32 v33, v11, v14
	v_fma_f32 v11, v11, v13, -v12
	global_store_b32 v[9:10], v33, off
	v_add_co_u32 v9, vcc_lo, v9, s38
	v_add_co_ci_u32_e32 v10, vcc_lo, s39, v10, vcc_lo
	s_cbranch_scc0 .LBB0_90
	s_branch .LBB0_88
.LBB0_91:                               ;   in Loop: Header=BB0_4 Depth=1
	s_or_b32 exec_lo, exec_lo, s50
	s_mov_b32 s2, 0
.LBB0_92:                               ;   in Loop: Header=BB0_4 Depth=1
	s_delay_alu instid0(SALU_CYCLE_1)
	s_and_not1_b32 vcc_lo, exec_lo, s2
	s_cbranch_vccnz .LBB0_3
; %bb.93:                               ;   in Loop: Header=BB0_4 Depth=1
	s_and_saveexec_b32 s42, s66
	s_cbranch_execz .LBB0_2
; %bb.94:                               ;   in Loop: Header=BB0_4 Depth=1
	s_lshl_b64 s[2:3], s[28:29], 2
	v_mov_b32_e32 v2, v1
	s_add_u32 s43, s76, s2
	s_addc_u32 s48, s77, s3
	s_mov_b32 s49, 0
	s_branch .LBB0_96
.LBB0_95:                               ;   in Loop: Header=BB0_96 Depth=2
	v_add_nc_u32_e32 v2, s26, v2
	v_add_co_u32 v4, s2, v4, s40
	s_delay_alu instid0(VALU_DEP_1) | instskip(NEXT) | instid1(VALU_DEP_3)
	v_add_co_ci_u32_e64 v5, s2, s41, v5, s2
	v_cmp_le_i32_e32 vcc_lo, s19, v2
	s_waitcnt vmcnt(0)
	global_store_b32 v[6:7], v3, off
	s_or_b32 s49, vcc_lo, s49
	s_delay_alu instid0(SALU_CYCLE_1)
	s_and_not1_b32 exec_lo, exec_lo, s49
	s_cbranch_execz .LBB0_2
.LBB0_96:                               ;   Parent Loop BB0_4 Depth=1
                                        ; =>  This Loop Header: Depth=2
                                        ;       Child Loop BB0_97 Depth 3
	v_ashrrev_i32_e32 v3, 31, v2
	v_dual_mov_b32 v9, v5 :: v_dual_mov_b32 v8, v4
	s_mov_b64 s[2:3], s[46:47]
	s_mov_b64 s[20:21], s[44:45]
	s_delay_alu instid0(VALU_DEP_2) | instskip(SKIP_1) | instid1(VALU_DEP_1)
	v_lshlrev_b64 v[6:7], 2, v[2:3]
	s_mov_b32 s50, s60
	v_add_co_u32 v6, vcc_lo, s43, v6
	s_delay_alu instid0(VALU_DEP_2)
	v_add_co_ci_u32_e32 v7, vcc_lo, s48, v7, vcc_lo
	s_and_not1_b32 vcc_lo, exec_lo, s62
	global_load_b32 v3, v[6:7], off
	s_cbranch_vccnz .LBB0_95
	.p2align	6
.LBB0_97:                               ;   Parent Loop BB0_4 Depth=1
                                        ;     Parent Loop BB0_96 Depth=2
                                        ; =>    This Inner Loop Header: Depth=3
	global_load_b32 v10, v[8:9], off
	s_clause 0x1
	global_load_b32 v11, v32, s[20:21]
	global_load_b32 v12, v32, s[2:3]
	s_add_i32 s50, s50, -1
	s_add_u32 s20, s20, -4
	s_addc_u32 s21, s21, -1
	s_add_u32 s2, s2, -4
	s_addc_u32 s3, s3, -1
	s_cmp_eq_u32 s50, 0
	s_waitcnt vmcnt(1)
	v_mul_f32_e32 v13, v11, v10
	s_waitcnt vmcnt(0)
	s_delay_alu instid0(VALU_DEP_1) | instskip(NEXT) | instid1(VALU_DEP_1)
	v_dual_mul_f32 v10, v12, v10 :: v_dual_fmac_f32 v13, v3, v12
	v_fma_f32 v3, v3, v11, -v10
	global_store_b32 v[8:9], v13, off
	v_add_co_u32 v8, vcc_lo, v8, s74
	v_add_co_ci_u32_e32 v9, vcc_lo, s75, v9, vcc_lo
	s_cbranch_scc0 .LBB0_97
	s_branch .LBB0_95
.LBB0_98:
	s_nop 0
	s_sendmsg sendmsg(MSG_DEALLOC_VGPRS)
	s_endpgm
	.section	.rodata,"a",@progbits
	.p2align	6, 0x0
	.amdhsa_kernel _ZN9rocsolver6v33100L11lasr_kernelIffPfiEEv13rocblas_side_14rocblas_pivot_15rocblas_direct_T2_S6_PT0_lS8_lT1_lS6_lS6_
		.amdhsa_group_segment_fixed_size 0
		.amdhsa_private_segment_fixed_size 0
		.amdhsa_kernarg_size 352
		.amdhsa_user_sgpr_count 14
		.amdhsa_user_sgpr_dispatch_ptr 0
		.amdhsa_user_sgpr_queue_ptr 0
		.amdhsa_user_sgpr_kernarg_segment_ptr 1
		.amdhsa_user_sgpr_dispatch_id 0
		.amdhsa_user_sgpr_private_segment_size 0
		.amdhsa_wavefront_size32 1
		.amdhsa_uses_dynamic_stack 0
		.amdhsa_enable_private_segment 0
		.amdhsa_system_sgpr_workgroup_id_x 1
		.amdhsa_system_sgpr_workgroup_id_y 0
		.amdhsa_system_sgpr_workgroup_id_z 1
		.amdhsa_system_sgpr_workgroup_info 0
		.amdhsa_system_vgpr_workitem_id 0
		.amdhsa_next_free_vgpr 41
		.amdhsa_next_free_sgpr 87
		.amdhsa_reserve_vcc 1
		.amdhsa_float_round_mode_32 0
		.amdhsa_float_round_mode_16_64 0
		.amdhsa_float_denorm_mode_32 3
		.amdhsa_float_denorm_mode_16_64 3
		.amdhsa_dx10_clamp 1
		.amdhsa_ieee_mode 1
		.amdhsa_fp16_overflow 0
		.amdhsa_workgroup_processor_mode 1
		.amdhsa_memory_ordered 1
		.amdhsa_forward_progress 0
		.amdhsa_shared_vgpr_count 0
		.amdhsa_exception_fp_ieee_invalid_op 0
		.amdhsa_exception_fp_denorm_src 0
		.amdhsa_exception_fp_ieee_div_zero 0
		.amdhsa_exception_fp_ieee_overflow 0
		.amdhsa_exception_fp_ieee_underflow 0
		.amdhsa_exception_fp_ieee_inexact 0
		.amdhsa_exception_int_div_zero 0
	.end_amdhsa_kernel
	.section	.text._ZN9rocsolver6v33100L11lasr_kernelIffPfiEEv13rocblas_side_14rocblas_pivot_15rocblas_direct_T2_S6_PT0_lS8_lT1_lS6_lS6_,"axG",@progbits,_ZN9rocsolver6v33100L11lasr_kernelIffPfiEEv13rocblas_side_14rocblas_pivot_15rocblas_direct_T2_S6_PT0_lS8_lT1_lS6_lS6_,comdat
.Lfunc_end0:
	.size	_ZN9rocsolver6v33100L11lasr_kernelIffPfiEEv13rocblas_side_14rocblas_pivot_15rocblas_direct_T2_S6_PT0_lS8_lT1_lS6_lS6_, .Lfunc_end0-_ZN9rocsolver6v33100L11lasr_kernelIffPfiEEv13rocblas_side_14rocblas_pivot_15rocblas_direct_T2_S6_PT0_lS8_lT1_lS6_lS6_
                                        ; -- End function
	.section	.AMDGPU.csdata,"",@progbits
; Kernel info:
; codeLenInByte = 4728
; NumSgprs: 89
; NumVgprs: 41
; ScratchSize: 0
; MemoryBound: 0
; FloatMode: 240
; IeeeMode: 1
; LDSByteSize: 0 bytes/workgroup (compile time only)
; SGPRBlocks: 11
; VGPRBlocks: 5
; NumSGPRsForWavesPerEU: 89
; NumVGPRsForWavesPerEU: 41
; Occupancy: 16
; WaveLimiterHint : 0
; COMPUTE_PGM_RSRC2:SCRATCH_EN: 0
; COMPUTE_PGM_RSRC2:USER_SGPR: 14
; COMPUTE_PGM_RSRC2:TRAP_HANDLER: 0
; COMPUTE_PGM_RSRC2:TGID_X_EN: 1
; COMPUTE_PGM_RSRC2:TGID_Y_EN: 0
; COMPUTE_PGM_RSRC2:TGID_Z_EN: 1
; COMPUTE_PGM_RSRC2:TIDIG_COMP_CNT: 0
	.section	.text._ZN9rocsolver6v33100L11lasr_kernelIddPdiEEv13rocblas_side_14rocblas_pivot_15rocblas_direct_T2_S6_PT0_lS8_lT1_lS6_lS6_,"axG",@progbits,_ZN9rocsolver6v33100L11lasr_kernelIddPdiEEv13rocblas_side_14rocblas_pivot_15rocblas_direct_T2_S6_PT0_lS8_lT1_lS6_lS6_,comdat
	.globl	_ZN9rocsolver6v33100L11lasr_kernelIddPdiEEv13rocblas_side_14rocblas_pivot_15rocblas_direct_T2_S6_PT0_lS8_lT1_lS6_lS6_ ; -- Begin function _ZN9rocsolver6v33100L11lasr_kernelIddPdiEEv13rocblas_side_14rocblas_pivot_15rocblas_direct_T2_S6_PT0_lS8_lT1_lS6_lS6_
	.p2align	8
	.type	_ZN9rocsolver6v33100L11lasr_kernelIddPdiEEv13rocblas_side_14rocblas_pivot_15rocblas_direct_T2_S6_PT0_lS8_lT1_lS6_lS6_,@function
_ZN9rocsolver6v33100L11lasr_kernelIddPdiEEv13rocblas_side_14rocblas_pivot_15rocblas_direct_T2_S6_PT0_lS8_lT1_lS6_lS6_: ; @_ZN9rocsolver6v33100L11lasr_kernelIddPdiEEv13rocblas_side_14rocblas_pivot_15rocblas_direct_T2_S6_PT0_lS8_lT1_lS6_lS6_
; %bb.0:
	s_load_b32 s33, s[0:1], 0x58
	s_waitcnt lgkmcnt(0)
	s_cmp_ge_u32 s15, s33
	s_cbranch_scc1 .LBB1_98
; %bb.1:
	s_clause 0x5
	s_load_b32 s12, s[0:1], 0x48
	s_load_b128 s[20:23], s[0:1], 0x38
	s_load_b64 s[24:25], s[0:1], 0x68
	s_load_b128 s[16:19], s[0:1], 0x0
	s_load_b32 s52, s[0:1], 0x10
	s_load_b32 s28, s[0:1], 0x60
	s_mov_b32 s43, 0
	v_mov_b32_e32 v34, 0
	s_mov_b32 s45, s43
	s_waitcnt lgkmcnt(0)
	s_ashr_i32 s13, s12, 31
	s_lshl_b64 s[2:3], s[22:23], 3
	s_and_b32 s26, s25, 0xffff
	s_add_u32 s25, s20, s2
	s_addc_u32 s53, s21, s3
	s_cmpk_lg_i32 s16, 0x8d
	v_mad_u64_u32 v[1:2], null, s14, s26, v[0:1]
	s_cselect_b32 s27, -1, 0
	s_cmpk_lg_i32 s16, 0x8e
	s_mov_b32 s22, s19
	s_cselect_b32 s30, -1, 0
	s_cmpk_lg_i32 s17, 0x119
	s_cselect_b32 s29, -1, 0
	s_cmpk_lg_i32 s17, 0x11b
	v_mad_i64_i32 v[2:3], null, s12, v1, 0
	s_cselect_b32 s31, -1, 0
	s_cmpk_lg_i32 s17, 0x11a
	s_load_b64 s[16:17], s[0:1], 0x50
	s_cselect_b32 s34, -1, 0
	s_cmpk_lg_i32 s18, 0xab
	s_mul_i32 s26, s28, s26
	s_cselect_b32 s35, -1, 0
	s_or_b32 s36, s27, s29
	s_ashr_i32 s23, s19, 31
	s_or_b32 s4, s36, s35
	s_add_i32 s42, s19, -2
	s_xor_b32 s14, s4, -1
	s_cmpk_lg_i32 s18, 0xac
	s_load_b256 s[4:11], s[0:1], 0x18
	s_cselect_b32 s37, -1, 0
	v_lshlrev_b64 v[2:3], 3, v[2:3]
	s_or_b32 s0, s36, s37
	v_cmp_le_i32_e32 vcc_lo, s19, v1
	s_xor_b32 s18, s0, -1
	s_cmp_gt_i32 s19, 1
	v_cmp_gt_i32_e64 s0, s52, v1
	s_cselect_b32 s54, -1, 0
	s_or_b32 s1, s27, s34
	s_or_b32 s27, s27, s31
	;; [unrolled: 1-line block ×9, first 2 shown]
	s_xor_b32 s55, s29, -1
	s_xor_b32 s56, s1, -1
	;; [unrolled: 1-line block ×5, first 2 shown]
	s_add_i32 s60, s52, -1
	s_xor_b32 s61, s28, -1
	s_add_i32 s44, s52, -2
	s_cmp_gt_i32 s52, 1
	s_mul_i32 s36, s12, s26
	s_cselect_b32 s62, -1, 0
	s_or_b32 s27, s30, s34
	s_lshl_b64 s[38:39], s[42:43], 3
	s_or_b32 s34, s27, s35
	s_or_b32 s27, s27, s37
	s_xor_b32 s63, s34, -1
	s_xor_b32 s64, s27, -1
	s_or_b32 s27, s30, s31
	s_or_b32 s30, s37, vcc_lo
	v_add_co_u32 v4, vcc_lo, v2, s2
	v_add_co_ci_u32_e32 v3, vcc_lo, s3, v3, vcc_lo
	s_or_b32 s31, s27, s35
	s_or_b32 s27, s27, s30
	s_mul_hi_i32 s37, s12, s26
	v_add_co_u32 v0, vcc_lo, s20, v4
	s_xor_b32 s65, s31, -1
	s_xor_b32 s66, s27, -1
	s_add_i32 s30, s19, -1
	s_waitcnt lgkmcnt(0)
	s_lshl_b64 s[34:35], s[16:17], 3
	s_ashr_i32 s27, s26, 31
	s_lshl_b64 s[36:37], s[36:37], 3
	s_lshl_b64 s[6:7], s[6:7], 3
	;; [unrolled: 1-line block ×3, first 2 shown]
	v_add_co_ci_u32_e32 v17, vcc_lo, s21, v3, vcc_lo
	s_add_u32 s67, s4, s38
	s_addc_u32 s68, s5, s39
	s_add_u32 s69, s8, s38
	v_add_co_u32 v18, vcc_lo, v0, 8
	s_addc_u32 s70, s9, s39
	s_add_u32 s31, s20, s38
	v_add_co_ci_u32_e32 v19, vcc_lo, 0, v17, vcc_lo
	s_addc_u32 s38, s21, s39
	v_add_co_u32 v20, vcc_lo, s31, v4
	v_add_co_ci_u32_e32 v21, vcc_lo, s38, v3, vcc_lo
	s_mov_b32 s31, s43
	s_mul_i32 s28, s12, s60
	s_lshl_b64 s[38:39], s[30:31], 3
	v_add_co_u32 v22, vcc_lo, v20, 8
	s_add_i32 s31, s19, 1
	s_mul_i32 s40, s13, s60
	s_mul_hi_u32 s41, s12, s60
	s_add_u32 s38, s20, s38
	v_add_co_ci_u32_e32 v23, vcc_lo, 0, v21, vcc_lo
	s_addc_u32 s39, s21, s39
	s_add_i32 s41, s41, s40
	s_mov_b32 s40, s28
	v_add_co_u32 v24, vcc_lo, s38, v4
	s_lshl_b64 s[46:47], s[40:41], 3
	v_add_co_ci_u32_e32 v25, vcc_lo, s39, v3, vcc_lo
	s_lshl_b64 s[38:39], s[12:13], 3
	s_lshl_b64 s[40:41], s[26:27], 3
	s_add_u32 s27, s46, s2
	v_ashrrev_i32_e32 v2, 31, v1
	s_addc_u32 s42, s47, s3
	s_add_u32 s46, s20, s27
	s_addc_u32 s47, s21, s42
	s_lshl_b64 s[42:43], s[44:45], 3
	v_lshlrev_b64 v[2:3], 3, v[1:2]
	s_add_u32 s27, s4, s42
	s_addc_u32 s71, s5, s43
	s_add_u32 s72, s8, s42
	s_mul_i32 s42, s13, s44
	s_mul_hi_u32 s45, s12, s44
	s_addc_u32 s13, s9, s43
	s_add_i32 s43, s45, s42
	s_mul_i32 s42, s12, s44
	v_add_co_u32 v26, vcc_lo, s25, v2
	s_lshl_b64 s[42:43], s[42:43], 3
	v_add_co_ci_u32_e32 v27, vcc_lo, s53, v3, vcc_lo
	s_add_u32 s42, s42, s2
	s_addc_u32 s43, s43, s3
	v_add_co_u32 v28, vcc_lo, s46, v2
	s_add_u32 s42, s20, s42
	s_addc_u32 s43, s21, s43
	v_add_co_ci_u32_e32 v29, vcc_lo, s47, v3, vcc_lo
	s_add_u32 s2, s2, s38
	v_add_co_u32 v30, vcc_lo, s42, v2
	s_addc_u32 s3, s3, s39
	s_add_u32 s2, s20, s2
	v_add_co_ci_u32_e32 v31, vcc_lo, s43, v3, vcc_lo
	s_addc_u32 s3, s21, s3
	v_add_co_u32 v32, vcc_lo, s2, v2
	v_cmp_gt_i32_e64 s1, s19, v1
	v_add_co_ci_u32_e32 v33, vcc_lo, s3, v3, vcc_lo
	s_add_i32 s73, s52, 1
	s_sub_u32 s74, 0, s38
	s_mul_hi_i32 s29, s12, s60
	s_subb_u32 s75, 0, s39
	s_branch .LBB1_4
.LBB1_2:                                ;   in Loop: Header=BB1_4 Depth=1
	s_or_b32 exec_lo, exec_lo, s42
.LBB1_3:                                ;   in Loop: Header=BB1_4 Depth=1
	s_add_i32 s15, s15, s24
	s_delay_alu instid0(SALU_CYCLE_1)
	s_cmp_ge_u32 s15, s33
	s_cbranch_scc1 .LBB1_98
.LBB1_4:                                ; =>This Loop Header: Depth=1
                                        ;     Child Loop BB1_8 Depth 2
                                        ;       Child Loop BB1_9 Depth 3
                                        ;     Child Loop BB1_16 Depth 2
                                        ;       Child Loop BB1_17 Depth 3
                                        ;     Child Loop BB1_24 Depth 2
                                        ;       Child Loop BB1_25 Depth 3
                                        ;     Child Loop BB1_32 Depth 2
                                        ;       Child Loop BB1_33 Depth 3
                                        ;     Child Loop BB1_40 Depth 2
                                        ;       Child Loop BB1_41 Depth 3
                                        ;     Child Loop BB1_48 Depth 2
                                        ;       Child Loop BB1_49 Depth 3
                                        ;     Child Loop BB1_56 Depth 2
                                        ;       Child Loop BB1_57 Depth 3
                                        ;     Child Loop BB1_64 Depth 2
                                        ;       Child Loop BB1_66 Depth 3
                                        ;     Child Loop BB1_73 Depth 2
                                        ;       Child Loop BB1_74 Depth 3
                                        ;     Child Loop BB1_81 Depth 2
                                        ;       Child Loop BB1_82 Depth 3
                                        ;     Child Loop BB1_89 Depth 2
                                        ;       Child Loop BB1_90 Depth 3
                                        ;     Child Loop BB1_96 Depth 2
                                        ;       Child Loop BB1_97 Depth 3
	s_mul_i32 s2, s7, s15
	s_mul_hi_u32 s3, s6, s15
	s_mul_i32 s80, s6, s15
	s_add_i32 s51, s3, s2
	s_mul_i32 s2, s11, s15
	s_mul_hi_u32 s3, s10, s15
	s_mul_i32 s81, s10, s15
	s_add_i32 s50, s3, s2
	;; [unrolled: 4-line block ×3, first 2 shown]
	s_add_u32 s20, s4, s80
	s_addc_u32 s21, s5, s51
	s_mul_i32 s2, s15, s17
	s_mul_hi_u32 s3, s15, s16
	s_add_u32 s42, s8, s81
	s_addc_u32 s43, s9, s50
	s_add_i32 s3, s3, s2
	s_mul_i32 s2, s15, s16
	v_add_co_u32 v2, vcc_lo, v18, s79
	s_lshl_b64 s[2:3], s[2:3], 3
	v_add_co_ci_u32_e32 v3, vcc_lo, s78, v19, vcc_lo
	s_add_u32 s76, s25, s2
	s_addc_u32 s77, s53, s3
	s_and_not1_b32 vcc_lo, exec_lo, s14
	s_mov_b32 s2, -1
	s_cbranch_vccnz .LBB1_11
; %bb.5:                                ;   in Loop: Header=BB1_4 Depth=1
	s_and_saveexec_b32 s46, s0
	s_cbranch_execz .LBB1_10
; %bb.6:                                ;   in Loop: Header=BB1_4 Depth=1
	s_lshl_b64 s[2:3], s[22:23], 3
	v_dual_mov_b32 v5, v3 :: v_dual_mov_b32 v4, v2
	s_add_u32 s2, s76, s2
	v_mov_b32_e32 v12, v1
	s_addc_u32 s3, s77, s3
	s_add_u32 s47, s2, -8
	s_addc_u32 s48, s3, -1
	s_mov_b32 s49, 0
	s_branch .LBB1_8
.LBB1_7:                                ;   in Loop: Header=BB1_8 Depth=2
	v_add_nc_u32_e32 v12, s26, v12
	v_add_co_u32 v8, vcc_lo, s47, v8
	v_add_co_ci_u32_e32 v9, vcc_lo, s48, v9, vcc_lo
	s_delay_alu instid0(VALU_DEP_3) | instskip(SKIP_1) | instid1(VALU_DEP_1)
	v_cmp_le_i32_e32 vcc_lo, s52, v12
	v_add_co_u32 v4, s2, v4, s36
	v_add_co_ci_u32_e64 v5, s2, s37, v5, s2
	s_or_b32 s49, vcc_lo, s49
	s_waitcnt vmcnt(0)
	global_store_b64 v[8:9], v[6:7], off
	s_and_not1_b32 exec_lo, exec_lo, s49
	s_cbranch_execz .LBB1_10
.LBB1_8:                                ;   Parent Loop BB1_4 Depth=1
                                        ; =>  This Loop Header: Depth=2
                                        ;       Child Loop BB1_9 Depth 3
	v_mad_i64_i32 v[6:7], null, v12, s12, 0
	v_dual_mov_b32 v11, v5 :: v_dual_mov_b32 v10, v4
	s_mov_b64 s[2:3], s[42:43]
	s_mov_b64 s[44:45], s[20:21]
	s_mov_b32 s82, s30
	s_delay_alu instid0(VALU_DEP_2) | instskip(NEXT) | instid1(VALU_DEP_1)
	v_lshlrev_b64 v[8:9], 3, v[6:7]
	v_add_co_u32 v6, vcc_lo, s76, v8
	s_delay_alu instid0(VALU_DEP_2)
	v_add_co_ci_u32_e32 v7, vcc_lo, s77, v9, vcc_lo
	s_and_not1_b32 vcc_lo, exec_lo, s54
	global_load_b64 v[6:7], v[6:7], off
	s_cbranch_vccnz .LBB1_7
	.p2align	6
.LBB1_9:                                ;   Parent Loop BB1_4 Depth=1
                                        ;     Parent Loop BB1_8 Depth=2
                                        ; =>    This Inner Loop Header: Depth=3
	global_load_b64 v[13:14], v34, s[2:3]
	global_load_b64 v[15:16], v[10:11], off
	global_load_b64 v[35:36], v34, s[44:45]
	s_add_i32 s82, s82, -1
	s_add_u32 s44, s44, 8
	s_addc_u32 s45, s45, 0
	s_add_u32 s2, s2, 8
	s_addc_u32 s3, s3, 0
	s_cmp_eq_u32 s82, 0
	s_waitcnt vmcnt(1)
	v_mul_f64 v[37:38], v[13:14], v[15:16]
	v_mul_f64 v[13:14], v[6:7], v[13:14]
	s_waitcnt vmcnt(0)
	s_delay_alu instid0(VALU_DEP_2) | instskip(NEXT) | instid1(VALU_DEP_2)
	v_fma_f64 v[37:38], v[6:7], v[35:36], v[37:38]
	v_fma_f64 v[6:7], v[35:36], v[15:16], -v[13:14]
	global_store_b64 v[10:11], v[37:38], off offset:-8
	v_add_co_u32 v10, vcc_lo, v10, 8
	v_add_co_ci_u32_e32 v11, vcc_lo, 0, v11, vcc_lo
	s_cbranch_scc0 .LBB1_9
	s_branch .LBB1_7
.LBB1_10:                               ;   in Loop: Header=BB1_4 Depth=1
	s_or_b32 exec_lo, exec_lo, s46
	s_mov_b32 s2, 0
.LBB1_11:                               ;   in Loop: Header=BB1_4 Depth=1
	s_delay_alu instid0(SALU_CYCLE_1)
	s_and_not1_b32 vcc_lo, exec_lo, s2
	s_cbranch_vccnz .LBB1_3
; %bb.12:                               ;   in Loop: Header=BB1_4 Depth=1
	s_add_u32 s44, s67, s80
	s_addc_u32 s45, s68, s51
	s_add_u32 s46, s69, s81
	s_addc_u32 s47, s70, s50
	s_and_not1_b32 vcc_lo, exec_lo, s18
	s_mov_b32 s2, -1
	s_cbranch_vccnz .LBB1_19
; %bb.13:                               ;   in Loop: Header=BB1_4 Depth=1
	s_and_saveexec_b32 s82, s0
	s_cbranch_execz .LBB1_18
; %bb.14:                               ;   in Loop: Header=BB1_4 Depth=1
	s_lshl_b64 s[2:3], s[22:23], 3
	v_add_co_u32 v4, vcc_lo, v22, s79
	v_add_co_ci_u32_e32 v5, vcc_lo, s78, v23, vcc_lo
	s_add_u32 s2, s76, s2
	v_mov_b32_e32 v12, v1
	s_addc_u32 s3, s77, s3
	s_add_u32 s83, s2, -8
	s_addc_u32 s84, s3, -1
	s_mov_b32 s85, 0
	s_branch .LBB1_16
.LBB1_15:                               ;   in Loop: Header=BB1_16 Depth=2
	v_add_nc_u32_e32 v12, s26, v12
	v_add_co_u32 v8, vcc_lo, s76, v8
	v_add_co_ci_u32_e32 v9, vcc_lo, s77, v9, vcc_lo
	s_delay_alu instid0(VALU_DEP_3) | instskip(SKIP_1) | instid1(VALU_DEP_1)
	v_cmp_le_i32_e32 vcc_lo, s52, v12
	v_add_co_u32 v4, s2, v4, s36
	v_add_co_ci_u32_e64 v5, s2, s37, v5, s2
	s_or_b32 s85, vcc_lo, s85
	s_waitcnt vmcnt(0)
	global_store_b64 v[8:9], v[6:7], off
	s_and_not1_b32 exec_lo, exec_lo, s85
	s_cbranch_execz .LBB1_18
.LBB1_16:                               ;   Parent Loop BB1_4 Depth=1
                                        ; =>  This Loop Header: Depth=2
                                        ;       Child Loop BB1_17 Depth 3
	v_mad_i64_i32 v[6:7], null, v12, s12, 0
	v_dual_mov_b32 v11, v5 :: v_dual_mov_b32 v10, v4
	s_mov_b64 s[2:3], s[46:47]
	s_mov_b64 s[48:49], s[44:45]
	s_mov_b32 s86, s30
	s_delay_alu instid0(VALU_DEP_2) | instskip(NEXT) | instid1(VALU_DEP_1)
	v_lshlrev_b64 v[8:9], 3, v[6:7]
	v_add_co_u32 v6, vcc_lo, s83, v8
	s_delay_alu instid0(VALU_DEP_2)
	v_add_co_ci_u32_e32 v7, vcc_lo, s84, v9, vcc_lo
	s_and_not1_b32 vcc_lo, exec_lo, s54
	global_load_b64 v[6:7], v[6:7], off
	s_cbranch_vccnz .LBB1_15
	.p2align	6
.LBB1_17:                               ;   Parent Loop BB1_4 Depth=1
                                        ;     Parent Loop BB1_16 Depth=2
                                        ; =>    This Inner Loop Header: Depth=3
	global_load_b64 v[13:14], v34, s[2:3]
	global_load_b64 v[15:16], v[10:11], off offset:-8
	global_load_b64 v[35:36], v34, s[48:49]
	s_add_i32 s86, s86, -1
	s_add_u32 s48, s48, -8
	s_addc_u32 s49, s49, -1
	s_add_u32 s2, s2, -8
	s_addc_u32 s3, s3, -1
	s_cmp_eq_u32 s86, 0
	s_waitcnt vmcnt(1)
	v_mul_f64 v[37:38], v[13:14], v[15:16]
	s_waitcnt vmcnt(0)
	v_mul_f64 v[15:16], v[35:36], v[15:16]
	s_delay_alu instid0(VALU_DEP_2) | instskip(NEXT) | instid1(VALU_DEP_2)
	v_fma_f64 v[35:36], v[6:7], v[35:36], -v[37:38]
	v_fma_f64 v[6:7], v[6:7], v[13:14], v[15:16]
	v_add_co_u32 v13, vcc_lo, v10, -8
	v_add_co_ci_u32_e32 v14, vcc_lo, -1, v11, vcc_lo
	global_store_b64 v[10:11], v[35:36], off
	v_dual_mov_b32 v10, v13 :: v_dual_mov_b32 v11, v14
	s_cbranch_scc0 .LBB1_17
	s_branch .LBB1_15
.LBB1_18:                               ;   in Loop: Header=BB1_4 Depth=1
	s_or_b32 exec_lo, exec_lo, s82
	s_mov_b32 s2, 0
.LBB1_19:                               ;   in Loop: Header=BB1_4 Depth=1
	s_delay_alu instid0(SALU_CYCLE_1)
	s_and_not1_b32 vcc_lo, exec_lo, s2
	s_cbranch_vccnz .LBB1_3
; %bb.20:                               ;   in Loop: Header=BB1_4 Depth=1
	s_and_not1_b32 vcc_lo, exec_lo, s55
	s_mov_b32 s2, -1
	s_cbranch_vccnz .LBB1_27
; %bb.21:                               ;   in Loop: Header=BB1_4 Depth=1
	s_and_saveexec_b32 s82, s0
	s_cbranch_execz .LBB1_26
; %bb.22:                               ;   in Loop: Header=BB1_4 Depth=1
	v_mov_b32_e32 v10, v1
	s_mov_b32 s83, 0
	s_branch .LBB1_24
.LBB1_23:                               ;   in Loop: Header=BB1_24 Depth=2
	v_add_nc_u32_e32 v10, s26, v10
	v_add_co_u32 v2, s2, v2, s36
	s_delay_alu instid0(VALU_DEP_1) | instskip(NEXT) | instid1(VALU_DEP_3)
	v_add_co_ci_u32_e64 v3, s2, s37, v3, s2
	v_cmp_le_i32_e32 vcc_lo, s52, v10
	s_waitcnt vmcnt(0)
	global_store_b64 v[4:5], v[6:7], off
	s_or_b32 s83, vcc_lo, s83
	s_delay_alu instid0(SALU_CYCLE_1)
	s_and_not1_b32 exec_lo, exec_lo, s83
	s_cbranch_execz .LBB1_26
.LBB1_24:                               ;   Parent Loop BB1_4 Depth=1
                                        ; =>  This Loop Header: Depth=2
                                        ;       Child Loop BB1_25 Depth 3
	s_delay_alu instid0(VALU_DEP_1) | instskip(SKIP_4) | instid1(VALU_DEP_2)
	v_mad_i64_i32 v[4:5], null, v10, s12, 0
	v_dual_mov_b32 v9, v3 :: v_dual_mov_b32 v8, v2
	s_mov_b32 s84, s30
	s_mov_b64 s[2:3], s[20:21]
	s_mov_b64 s[48:49], s[42:43]
	v_lshlrev_b64 v[4:5], 3, v[4:5]
	s_delay_alu instid0(VALU_DEP_1) | instskip(NEXT) | instid1(VALU_DEP_2)
	v_add_co_u32 v4, vcc_lo, s76, v4
	v_add_co_ci_u32_e32 v5, vcc_lo, s77, v5, vcc_lo
	s_and_not1_b32 vcc_lo, exec_lo, s54
	global_load_b64 v[6:7], v[4:5], off
	s_cbranch_vccnz .LBB1_23
	.p2align	6
.LBB1_25:                               ;   Parent Loop BB1_4 Depth=1
                                        ;     Parent Loop BB1_24 Depth=2
                                        ; =>    This Inner Loop Header: Depth=3
	s_clause 0x1
	global_load_b64 v[11:12], v34, s[48:49]
	global_load_b64 v[13:14], v34, s[2:3]
	global_load_b64 v[15:16], v[8:9], off
	s_add_u32 s48, s48, 8
	s_addc_u32 s49, s49, 0
	s_add_u32 s2, s2, 8
	s_addc_u32 s3, s3, 0
	s_add_i32 s84, s84, -1
	s_delay_alu instid0(SALU_CYCLE_1) | instskip(SKIP_4) | instid1(VALU_DEP_2)
	s_cmp_eq_u32 s84, 0
	s_waitcnt vmcnt(2)
	v_mul_f64 v[35:36], v[6:7], v[11:12]
	s_waitcnt vmcnt(0)
	v_mul_f64 v[11:12], v[11:12], v[15:16]
	v_fma_f64 v[15:16], v[13:14], v[15:16], -v[35:36]
	s_delay_alu instid0(VALU_DEP_2)
	v_fma_f64 v[6:7], v[6:7], v[13:14], v[11:12]
	global_store_b64 v[8:9], v[15:16], off
	v_add_co_u32 v8, vcc_lo, v8, 8
	v_add_co_ci_u32_e32 v9, vcc_lo, 0, v9, vcc_lo
	s_cbranch_scc0 .LBB1_25
	s_branch .LBB1_23
.LBB1_26:                               ;   in Loop: Header=BB1_4 Depth=1
	s_or_b32 exec_lo, exec_lo, s82
	s_mov_b32 s2, 0
.LBB1_27:                               ;   in Loop: Header=BB1_4 Depth=1
	s_delay_alu instid0(SALU_CYCLE_1)
	s_and_not1_b32 vcc_lo, exec_lo, s2
	s_cbranch_vccnz .LBB1_3
; %bb.28:                               ;   in Loop: Header=BB1_4 Depth=1
	s_and_not1_b32 vcc_lo, exec_lo, s56
	s_mov_b32 s2, -1
	s_cbranch_vccnz .LBB1_35
; %bb.29:                               ;   in Loop: Header=BB1_4 Depth=1
	s_and_saveexec_b32 s82, s0
	s_cbranch_execz .LBB1_34
; %bb.30:                               ;   in Loop: Header=BB1_4 Depth=1
	v_add_co_u32 v2, vcc_lo, v24, s79
	v_add_co_ci_u32_e32 v3, vcc_lo, s78, v25, vcc_lo
	v_mov_b32_e32 v10, v1
	s_mov_b32 s83, 0
	s_branch .LBB1_32
.LBB1_31:                               ;   in Loop: Header=BB1_32 Depth=2
	v_add_nc_u32_e32 v10, s26, v10
	v_add_co_u32 v2, s2, v2, s36
	s_delay_alu instid0(VALU_DEP_1) | instskip(NEXT) | instid1(VALU_DEP_3)
	v_add_co_ci_u32_e64 v3, s2, s37, v3, s2
	v_cmp_le_i32_e32 vcc_lo, s52, v10
	s_waitcnt vmcnt(0)
	global_store_b64 v[4:5], v[6:7], off
	s_or_b32 s83, vcc_lo, s83
	s_delay_alu instid0(SALU_CYCLE_1)
	s_and_not1_b32 exec_lo, exec_lo, s83
	s_cbranch_execz .LBB1_34
.LBB1_32:                               ;   Parent Loop BB1_4 Depth=1
                                        ; =>  This Loop Header: Depth=2
                                        ;       Child Loop BB1_33 Depth 3
	s_delay_alu instid0(VALU_DEP_1) | instskip(SKIP_4) | instid1(VALU_DEP_2)
	v_mad_i64_i32 v[4:5], null, v10, s12, 0
	v_dual_mov_b32 v9, v3 :: v_dual_mov_b32 v8, v2
	s_mov_b64 s[2:3], s[46:47]
	s_mov_b64 s[48:49], s[44:45]
	s_mov_b32 s84, s31
	v_lshlrev_b64 v[4:5], 3, v[4:5]
	s_delay_alu instid0(VALU_DEP_1) | instskip(NEXT) | instid1(VALU_DEP_2)
	v_add_co_u32 v4, vcc_lo, s76, v4
	v_add_co_ci_u32_e32 v5, vcc_lo, s77, v5, vcc_lo
	s_and_not1_b32 vcc_lo, exec_lo, s54
	global_load_b64 v[6:7], v[4:5], off
	s_cbranch_vccnz .LBB1_31
	.p2align	6
.LBB1_33:                               ;   Parent Loop BB1_4 Depth=1
                                        ;     Parent Loop BB1_32 Depth=2
                                        ; =>    This Inner Loop Header: Depth=3
	s_clause 0x1
	global_load_b64 v[11:12], v34, s[2:3]
	global_load_b64 v[13:14], v34, s[48:49]
	global_load_b64 v[15:16], v[8:9], off
	s_add_i32 s84, s84, -1
	s_add_u32 s48, s48, -8
	s_addc_u32 s49, s49, -1
	s_add_u32 s2, s2, -8
	s_addc_u32 s3, s3, -1
	s_cmp_lt_u32 s84, 3
	s_waitcnt vmcnt(2)
	v_mul_f64 v[35:36], v[6:7], v[11:12]
	s_waitcnt vmcnt(0)
	v_mul_f64 v[11:12], v[11:12], v[15:16]
	s_delay_alu instid0(VALU_DEP_2) | instskip(NEXT) | instid1(VALU_DEP_2)
	v_fma_f64 v[15:16], v[13:14], v[15:16], -v[35:36]
	v_fma_f64 v[6:7], v[6:7], v[13:14], v[11:12]
	global_store_b64 v[8:9], v[15:16], off
	v_add_co_u32 v8, vcc_lo, v8, -8
	v_add_co_ci_u32_e32 v9, vcc_lo, -1, v9, vcc_lo
	s_cbranch_scc0 .LBB1_33
	s_branch .LBB1_31
.LBB1_34:                               ;   in Loop: Header=BB1_4 Depth=1
	s_or_b32 exec_lo, exec_lo, s82
	s_mov_b32 s2, 0
.LBB1_35:                               ;   in Loop: Header=BB1_4 Depth=1
	s_delay_alu instid0(SALU_CYCLE_1)
	s_and_not1_b32 vcc_lo, exec_lo, s2
	s_cbranch_vccnz .LBB1_3
; %bb.36:                               ;   in Loop: Header=BB1_4 Depth=1
	s_and_not1_b32 vcc_lo, exec_lo, s57
	s_mov_b32 s2, -1
	s_cbranch_vccnz .LBB1_43
; %bb.37:                               ;   in Loop: Header=BB1_4 Depth=1
	s_and_saveexec_b32 s82, s0
	s_cbranch_execz .LBB1_42
; %bb.38:                               ;   in Loop: Header=BB1_4 Depth=1
	s_lshl_b64 s[2:3], s[22:23], 3
	v_add_co_u32 v2, vcc_lo, v0, s79
	v_add_co_ci_u32_e32 v3, vcc_lo, s78, v17, vcc_lo
	s_add_u32 s2, s76, s2
	v_mov_b32_e32 v10, v1
	s_addc_u32 s3, s77, s3
	s_add_u32 s83, s2, -8
	s_addc_u32 s84, s3, -1
	s_mov_b32 s85, 0
	s_branch .LBB1_40
.LBB1_39:                               ;   in Loop: Header=BB1_40 Depth=2
	v_add_nc_u32_e32 v10, s26, v10
	v_add_co_u32 v2, s2, v2, s36
	s_delay_alu instid0(VALU_DEP_1) | instskip(NEXT) | instid1(VALU_DEP_3)
	v_add_co_ci_u32_e64 v3, s2, s37, v3, s2
	v_cmp_le_i32_e32 vcc_lo, s52, v10
	s_waitcnt vmcnt(0)
	global_store_b64 v[4:5], v[6:7], off
	s_or_b32 s85, vcc_lo, s85
	s_delay_alu instid0(SALU_CYCLE_1)
	s_and_not1_b32 exec_lo, exec_lo, s85
	s_cbranch_execz .LBB1_42
.LBB1_40:                               ;   Parent Loop BB1_4 Depth=1
                                        ; =>  This Loop Header: Depth=2
                                        ;       Child Loop BB1_41 Depth 3
	v_mad_i64_i32 v[4:5], null, v10, s12, 0
	v_dual_mov_b32 v9, v3 :: v_dual_mov_b32 v8, v2
	s_mov_b64 s[2:3], s[42:43]
	s_mov_b64 s[48:49], s[20:21]
	s_mov_b32 s86, s30
	s_delay_alu instid0(VALU_DEP_2) | instskip(NEXT) | instid1(VALU_DEP_1)
	v_lshlrev_b64 v[4:5], 3, v[4:5]
	v_add_co_u32 v4, vcc_lo, s83, v4
	s_delay_alu instid0(VALU_DEP_2)
	v_add_co_ci_u32_e32 v5, vcc_lo, s84, v5, vcc_lo
	s_and_not1_b32 vcc_lo, exec_lo, s54
	global_load_b64 v[6:7], v[4:5], off
	s_cbranch_vccnz .LBB1_39
	.p2align	6
.LBB1_41:                               ;   Parent Loop BB1_4 Depth=1
                                        ;     Parent Loop BB1_40 Depth=2
                                        ; =>    This Inner Loop Header: Depth=3
	global_load_b64 v[11:12], v[8:9], off
	s_clause 0x1
	global_load_b64 v[13:14], v34, s[48:49]
	global_load_b64 v[15:16], v34, s[2:3]
	s_add_i32 s86, s86, -1
	s_add_u32 s48, s48, 8
	s_addc_u32 s49, s49, 0
	s_add_u32 s2, s2, 8
	s_addc_u32 s3, s3, 0
	s_cmp_eq_u32 s86, 0
	s_waitcnt vmcnt(1)
	v_mul_f64 v[35:36], v[13:14], v[11:12]
	s_waitcnt vmcnt(0)
	v_mul_f64 v[11:12], v[15:16], v[11:12]
	s_delay_alu instid0(VALU_DEP_2) | instskip(NEXT) | instid1(VALU_DEP_2)
	v_fma_f64 v[15:16], v[6:7], v[15:16], v[35:36]
	v_fma_f64 v[6:7], v[6:7], v[13:14], -v[11:12]
	global_store_b64 v[8:9], v[15:16], off
	v_add_co_u32 v8, vcc_lo, v8, 8
	v_add_co_ci_u32_e32 v9, vcc_lo, 0, v9, vcc_lo
	s_cbranch_scc0 .LBB1_41
	s_branch .LBB1_39
.LBB1_42:                               ;   in Loop: Header=BB1_4 Depth=1
	s_or_b32 exec_lo, exec_lo, s82
	s_mov_b32 s2, 0
.LBB1_43:                               ;   in Loop: Header=BB1_4 Depth=1
	s_delay_alu instid0(SALU_CYCLE_1)
	s_and_not1_b32 vcc_lo, exec_lo, s2
	s_cbranch_vccnz .LBB1_3
; %bb.44:                               ;   in Loop: Header=BB1_4 Depth=1
	s_and_not1_b32 vcc_lo, exec_lo, s58
	s_mov_b32 s2, -1
	s_cbranch_vccnz .LBB1_51
; %bb.45:                               ;   in Loop: Header=BB1_4 Depth=1
	s_and_saveexec_b32 s82, s0
	s_cbranch_execz .LBB1_50
; %bb.46:                               ;   in Loop: Header=BB1_4 Depth=1
	s_lshl_b64 s[2:3], s[22:23], 3
	v_add_co_u32 v2, vcc_lo, v20, s79
	v_add_co_ci_u32_e32 v3, vcc_lo, s78, v21, vcc_lo
	s_add_u32 s2, s76, s2
	v_mov_b32_e32 v10, v1
	s_addc_u32 s3, s77, s3
	s_add_u32 s83, s2, -8
	s_addc_u32 s84, s3, -1
	s_mov_b32 s85, 0
	s_branch .LBB1_48
.LBB1_47:                               ;   in Loop: Header=BB1_48 Depth=2
	v_add_nc_u32_e32 v10, s26, v10
	v_add_co_u32 v2, s2, v2, s36
	s_delay_alu instid0(VALU_DEP_1) | instskip(NEXT) | instid1(VALU_DEP_3)
	v_add_co_ci_u32_e64 v3, s2, s37, v3, s2
	v_cmp_le_i32_e32 vcc_lo, s52, v10
	s_waitcnt vmcnt(0)
	global_store_b64 v[4:5], v[6:7], off
	s_or_b32 s85, vcc_lo, s85
	s_delay_alu instid0(SALU_CYCLE_1)
	s_and_not1_b32 exec_lo, exec_lo, s85
	s_cbranch_execz .LBB1_50
.LBB1_48:                               ;   Parent Loop BB1_4 Depth=1
                                        ; =>  This Loop Header: Depth=2
                                        ;       Child Loop BB1_49 Depth 3
	v_mad_i64_i32 v[4:5], null, v10, s12, 0
	v_dual_mov_b32 v9, v3 :: v_dual_mov_b32 v8, v2
	s_mov_b64 s[2:3], s[46:47]
	s_mov_b64 s[48:49], s[44:45]
	s_mov_b32 s86, s30
	s_delay_alu instid0(VALU_DEP_2) | instskip(NEXT) | instid1(VALU_DEP_1)
	v_lshlrev_b64 v[4:5], 3, v[4:5]
	v_add_co_u32 v4, vcc_lo, s83, v4
	s_delay_alu instid0(VALU_DEP_2)
	v_add_co_ci_u32_e32 v5, vcc_lo, s84, v5, vcc_lo
	s_and_not1_b32 vcc_lo, exec_lo, s54
	global_load_b64 v[6:7], v[4:5], off
	s_cbranch_vccnz .LBB1_47
	.p2align	6
.LBB1_49:                               ;   Parent Loop BB1_4 Depth=1
                                        ;     Parent Loop BB1_48 Depth=2
                                        ; =>    This Inner Loop Header: Depth=3
	global_load_b64 v[11:12], v[8:9], off
	s_clause 0x1
	global_load_b64 v[13:14], v34, s[48:49]
	global_load_b64 v[15:16], v34, s[2:3]
	s_add_i32 s86, s86, -1
	s_add_u32 s48, s48, -8
	s_addc_u32 s49, s49, -1
	s_add_u32 s2, s2, -8
	s_addc_u32 s3, s3, -1
	s_cmp_eq_u32 s86, 0
	s_waitcnt vmcnt(1)
	v_mul_f64 v[35:36], v[13:14], v[11:12]
	s_waitcnt vmcnt(0)
	v_mul_f64 v[11:12], v[15:16], v[11:12]
	s_delay_alu instid0(VALU_DEP_2) | instskip(NEXT) | instid1(VALU_DEP_2)
	v_fma_f64 v[15:16], v[6:7], v[15:16], v[35:36]
	v_fma_f64 v[6:7], v[6:7], v[13:14], -v[11:12]
	global_store_b64 v[8:9], v[15:16], off
	v_add_co_u32 v8, vcc_lo, v8, -8
	v_add_co_ci_u32_e32 v9, vcc_lo, -1, v9, vcc_lo
	s_cbranch_scc0 .LBB1_49
	s_branch .LBB1_47
.LBB1_50:                               ;   in Loop: Header=BB1_4 Depth=1
	s_or_b32 exec_lo, exec_lo, s82
	s_mov_b32 s2, 0
.LBB1_51:                               ;   in Loop: Header=BB1_4 Depth=1
	s_delay_alu instid0(SALU_CYCLE_1)
	s_and_not1_b32 vcc_lo, exec_lo, s2
	s_cbranch_vccnz .LBB1_3
; %bb.52:                               ;   in Loop: Header=BB1_4 Depth=1
	v_add_co_u32 v2, vcc_lo, v26, s79
	v_add_co_ci_u32_e32 v3, vcc_lo, s78, v27, vcc_lo
	s_and_not1_b32 vcc_lo, exec_lo, s59
	s_mov_b32 s2, -1
	s_cbranch_vccnz .LBB1_59
; %bb.53:                               ;   in Loop: Header=BB1_4 Depth=1
	s_and_saveexec_b32 s46, s1
	s_cbranch_execz .LBB1_58
; %bb.54:                               ;   in Loop: Header=BB1_4 Depth=1
	s_lshl_b64 s[2:3], s[28:29], 3
	v_dual_mov_b32 v5, v3 :: v_dual_mov_b32 v4, v2
	v_mov_b32_e32 v6, v1
	s_add_u32 s47, s76, s2
	s_addc_u32 s48, s77, s3
	s_mov_b32 s49, 0
	s_branch .LBB1_56
.LBB1_55:                               ;   in Loop: Header=BB1_56 Depth=2
	v_add_nc_u32_e32 v6, s26, v6
	v_add_co_u32 v9, vcc_lo, s47, v9
	v_add_co_ci_u32_e32 v10, vcc_lo, s48, v10, vcc_lo
	s_delay_alu instid0(VALU_DEP_3) | instskip(SKIP_1) | instid1(VALU_DEP_1)
	v_cmp_le_i32_e32 vcc_lo, s19, v6
	v_add_co_u32 v4, s2, v4, s40
	v_add_co_ci_u32_e64 v5, s2, s41, v5, s2
	s_or_b32 s49, vcc_lo, s49
	s_waitcnt vmcnt(0)
	global_store_b64 v[9:10], v[7:8], off
	s_and_not1_b32 exec_lo, exec_lo, s49
	s_cbranch_execz .LBB1_58
.LBB1_56:                               ;   Parent Loop BB1_4 Depth=1
                                        ; =>  This Loop Header: Depth=2
                                        ;       Child Loop BB1_57 Depth 3
	v_ashrrev_i32_e32 v7, 31, v6
	v_dual_mov_b32 v12, v5 :: v_dual_mov_b32 v11, v4
	s_mov_b64 s[2:3], s[42:43]
	s_mov_b64 s[44:45], s[20:21]
	s_delay_alu instid0(VALU_DEP_2) | instskip(SKIP_1) | instid1(VALU_DEP_1)
	v_lshlrev_b64 v[9:10], 3, v[6:7]
	s_mov_b32 s82, s60
	v_add_co_u32 v7, vcc_lo, s76, v9
	s_delay_alu instid0(VALU_DEP_2)
	v_add_co_ci_u32_e32 v8, vcc_lo, s77, v10, vcc_lo
	s_and_not1_b32 vcc_lo, exec_lo, s62
	global_load_b64 v[7:8], v[7:8], off
	s_cbranch_vccnz .LBB1_55
	.p2align	6
.LBB1_57:                               ;   Parent Loop BB1_4 Depth=1
                                        ;     Parent Loop BB1_56 Depth=2
                                        ; =>    This Inner Loop Header: Depth=3
	s_delay_alu instid0(VALU_DEP_1) | instskip(NEXT) | instid1(VALU_DEP_2)
	v_add_co_u32 v13, vcc_lo, v11, s38
	v_add_co_ci_u32_e32 v14, vcc_lo, s39, v12, vcc_lo
	s_add_i32 s82, s82, -1
	global_load_b64 v[15:16], v34, s[2:3]
	global_load_b64 v[35:36], v[13:14], off
	global_load_b64 v[37:38], v34, s[44:45]
	s_add_u32 s44, s44, 8
	s_addc_u32 s45, s45, 0
	s_add_u32 s2, s2, 8
	s_addc_u32 s3, s3, 0
	s_cmp_eq_u32 s82, 0
	s_waitcnt vmcnt(1)
	v_mul_f64 v[39:40], v[15:16], v[35:36]
	v_mul_f64 v[15:16], v[7:8], v[15:16]
	s_waitcnt vmcnt(0)
	s_delay_alu instid0(VALU_DEP_2) | instskip(NEXT) | instid1(VALU_DEP_2)
	v_fma_f64 v[39:40], v[7:8], v[37:38], v[39:40]
	v_fma_f64 v[7:8], v[37:38], v[35:36], -v[15:16]
	global_store_b64 v[11:12], v[39:40], off
	v_dual_mov_b32 v11, v13 :: v_dual_mov_b32 v12, v14
	s_cbranch_scc0 .LBB1_57
	s_branch .LBB1_55
.LBB1_58:                               ;   in Loop: Header=BB1_4 Depth=1
	s_or_b32 exec_lo, exec_lo, s46
	s_mov_b32 s2, 0
.LBB1_59:                               ;   in Loop: Header=BB1_4 Depth=1
	s_delay_alu instid0(SALU_CYCLE_1)
	s_and_not1_b32 vcc_lo, exec_lo, s2
	s_cbranch_vccnz .LBB1_3
; %bb.60:                               ;   in Loop: Header=BB1_4 Depth=1
	v_add_co_u32 v4, vcc_lo, v30, s79
	v_add_co_ci_u32_e32 v5, vcc_lo, s78, v31, vcc_lo
	v_add_co_u32 v6, vcc_lo, v28, s79
	s_add_u32 s44, s27, s80
	v_add_co_ci_u32_e32 v7, vcc_lo, s78, v29, vcc_lo
	s_addc_u32 s45, s71, s51
	s_add_u32 s46, s72, s81
	s_addc_u32 s47, s13, s50
	s_and_not1_b32 vcc_lo, exec_lo, s61
	s_mov_b32 s2, -1
	s_cbranch_vccnz .LBB1_68
; %bb.61:                               ;   in Loop: Header=BB1_4 Depth=1
	s_and_saveexec_b32 s80, s1
	s_cbranch_execz .LBB1_67
; %bb.62:                               ;   in Loop: Header=BB1_4 Depth=1
	s_lshl_b64 s[2:3], s[28:29], 3
	v_dual_mov_b32 v9, v5 :: v_dual_mov_b32 v8, v4
	v_dual_mov_b32 v11, v7 :: v_dual_mov_b32 v10, v6
	v_mov_b32_e32 v12, v1
	s_add_u32 s81, s76, s2
	s_addc_u32 s82, s77, s3
	s_mov_b32 s83, 0
	s_branch .LBB1_64
.LBB1_63:                               ;   in Loop: Header=BB1_64 Depth=2
	v_add_co_u32 v15, vcc_lo, s76, v15
	v_add_nc_u32_e32 v12, s26, v12
	v_add_co_ci_u32_e32 v16, vcc_lo, s77, v16, vcc_lo
	v_add_co_u32 v10, vcc_lo, v10, s40
	v_add_co_ci_u32_e32 v11, vcc_lo, s41, v11, vcc_lo
	s_delay_alu instid0(VALU_DEP_4) | instskip(SKIP_1) | instid1(VALU_DEP_1)
	v_cmp_le_i32_e32 vcc_lo, s19, v12
	v_add_co_u32 v8, s2, v8, s40
	v_add_co_ci_u32_e64 v9, s2, s41, v9, s2
	s_or_b32 s83, vcc_lo, s83
	s_waitcnt vmcnt(0)
	global_store_b64 v[15:16], v[13:14], off
	s_and_not1_b32 exec_lo, exec_lo, s83
	s_cbranch_execz .LBB1_67
.LBB1_64:                               ;   Parent Loop BB1_4 Depth=1
                                        ; =>  This Loop Header: Depth=2
                                        ;       Child Loop BB1_66 Depth 3
	v_ashrrev_i32_e32 v13, 31, v12
	s_delay_alu instid0(VALU_DEP_1) | instskip(NEXT) | instid1(VALU_DEP_1)
	v_lshlrev_b64 v[15:16], 3, v[12:13]
	v_add_co_u32 v13, vcc_lo, s81, v15
	s_delay_alu instid0(VALU_DEP_2)
	v_add_co_ci_u32_e32 v14, vcc_lo, s82, v16, vcc_lo
	s_and_not1_b32 vcc_lo, exec_lo, s62
	global_load_b64 v[13:14], v[13:14], off
	s_cbranch_vccnz .LBB1_63
; %bb.65:                               ;   in Loop: Header=BB1_64 Depth=2
	s_mov_b64 s[2:3], 0
	s_mov_b64 s[48:49], s[46:47]
	;; [unrolled: 1-line block ×3, first 2 shown]
	s_mov_b32 s84, s60
	.p2align	6
.LBB1_66:                               ;   Parent Loop BB1_4 Depth=1
                                        ;     Parent Loop BB1_64 Depth=2
                                        ; =>    This Inner Loop Header: Depth=3
	v_add_co_u32 v35, vcc_lo, v8, s2
	v_add_co_ci_u32_e32 v36, vcc_lo, s3, v9, vcc_lo
	s_add_i32 s84, s84, -1
	s_clause 0x1
	global_load_b64 v[37:38], v34, s[50:51]
	global_load_b64 v[39:40], v34, s[48:49]
	global_load_b64 v[35:36], v[35:36], off
	s_waitcnt vmcnt(0)
	v_mul_f64 v[41:42], v[39:40], v[35:36]
	v_mul_f64 v[35:36], v[37:38], v[35:36]
	s_delay_alu instid0(VALU_DEP_2) | instskip(NEXT) | instid1(VALU_DEP_2)
	v_fma_f64 v[37:38], v[13:14], v[37:38], -v[41:42]
	v_fma_f64 v[13:14], v[13:14], v[39:40], v[35:36]
	v_add_co_u32 v35, vcc_lo, v10, s2
	s_sub_u32 s2, s2, s38
	v_add_co_ci_u32_e32 v36, vcc_lo, s3, v11, vcc_lo
	s_subb_u32 s3, s3, s39
	s_add_u32 s50, s50, -8
	s_addc_u32 s51, s51, -1
	s_add_u32 s48, s48, -8
	s_addc_u32 s49, s49, -1
	s_cmp_eq_u32 s84, 0
	global_store_b64 v[35:36], v[37:38], off
	s_cbranch_scc0 .LBB1_66
	s_branch .LBB1_63
.LBB1_67:                               ;   in Loop: Header=BB1_4 Depth=1
	s_or_b32 exec_lo, exec_lo, s80
	s_mov_b32 s2, 0
.LBB1_68:                               ;   in Loop: Header=BB1_4 Depth=1
	s_delay_alu instid0(SALU_CYCLE_1)
	s_and_not1_b32 vcc_lo, exec_lo, s2
	s_cbranch_vccnz .LBB1_3
; %bb.69:                               ;   in Loop: Header=BB1_4 Depth=1
	s_and_not1_b32 vcc_lo, exec_lo, s63
	s_mov_b32 s2, -1
	s_cbranch_vccnz .LBB1_76
; %bb.70:                               ;   in Loop: Header=BB1_4 Depth=1
	s_and_saveexec_b32 s50, s1
	s_cbranch_execz .LBB1_75
; %bb.71:                               ;   in Loop: Header=BB1_4 Depth=1
	v_add_co_u32 v8, vcc_lo, v32, s79
	v_add_co_ci_u32_e32 v9, vcc_lo, s78, v33, vcc_lo
	v_mov_b32_e32 v10, v1
	s_mov_b32 s51, 0
	s_branch .LBB1_73
.LBB1_72:                               ;   in Loop: Header=BB1_73 Depth=2
	v_add_nc_u32_e32 v10, s26, v10
	v_add_co_u32 v8, s2, v8, s40
	s_delay_alu instid0(VALU_DEP_1) | instskip(NEXT) | instid1(VALU_DEP_3)
	v_add_co_ci_u32_e64 v9, s2, s41, v9, s2
	v_cmp_le_i32_e32 vcc_lo, s19, v10
	s_waitcnt vmcnt(0)
	global_store_b64 v[11:12], v[13:14], off
	s_or_b32 s51, vcc_lo, s51
	s_delay_alu instid0(SALU_CYCLE_1)
	s_and_not1_b32 exec_lo, exec_lo, s51
	s_cbranch_execz .LBB1_75
.LBB1_73:                               ;   Parent Loop BB1_4 Depth=1
                                        ; =>  This Loop Header: Depth=2
                                        ;       Child Loop BB1_74 Depth 3
	s_delay_alu instid0(VALU_DEP_1) | instskip(SKIP_3) | instid1(VALU_DEP_2)
	v_ashrrev_i32_e32 v11, 31, v10
	v_dual_mov_b32 v16, v9 :: v_dual_mov_b32 v15, v8
	s_mov_b32 s78, s60
	s_mov_b64 s[2:3], s[20:21]
	v_lshlrev_b64 v[11:12], 3, v[10:11]
	s_mov_b64 s[48:49], s[42:43]
	s_delay_alu instid0(VALU_DEP_1) | instskip(NEXT) | instid1(VALU_DEP_2)
	v_add_co_u32 v11, vcc_lo, s76, v11
	v_add_co_ci_u32_e32 v12, vcc_lo, s77, v12, vcc_lo
	s_and_not1_b32 vcc_lo, exec_lo, s62
	global_load_b64 v[13:14], v[11:12], off
	s_cbranch_vccnz .LBB1_72
	.p2align	6
.LBB1_74:                               ;   Parent Loop BB1_4 Depth=1
                                        ;     Parent Loop BB1_73 Depth=2
                                        ; =>    This Inner Loop Header: Depth=3
	s_clause 0x1
	global_load_b64 v[35:36], v34, s[48:49]
	global_load_b64 v[37:38], v34, s[2:3]
	global_load_b64 v[39:40], v[15:16], off
	s_add_u32 s48, s48, 8
	s_addc_u32 s49, s49, 0
	s_add_u32 s2, s2, 8
	s_addc_u32 s3, s3, 0
	s_add_i32 s78, s78, -1
	s_delay_alu instid0(SALU_CYCLE_1) | instskip(SKIP_4) | instid1(VALU_DEP_2)
	s_cmp_eq_u32 s78, 0
	s_waitcnt vmcnt(2)
	v_mul_f64 v[41:42], v[13:14], v[35:36]
	s_waitcnt vmcnt(0)
	v_mul_f64 v[35:36], v[35:36], v[39:40]
	v_fma_f64 v[39:40], v[37:38], v[39:40], -v[41:42]
	s_delay_alu instid0(VALU_DEP_2)
	v_fma_f64 v[13:14], v[13:14], v[37:38], v[35:36]
	global_store_b64 v[15:16], v[39:40], off
	v_add_co_u32 v15, vcc_lo, v15, s38
	v_add_co_ci_u32_e32 v16, vcc_lo, s39, v16, vcc_lo
	s_cbranch_scc0 .LBB1_74
	s_branch .LBB1_72
.LBB1_75:                               ;   in Loop: Header=BB1_4 Depth=1
	s_or_b32 exec_lo, exec_lo, s50
	s_mov_b32 s2, 0
.LBB1_76:                               ;   in Loop: Header=BB1_4 Depth=1
	s_delay_alu instid0(SALU_CYCLE_1)
	s_and_not1_b32 vcc_lo, exec_lo, s2
	s_cbranch_vccnz .LBB1_3
; %bb.77:                               ;   in Loop: Header=BB1_4 Depth=1
	s_and_not1_b32 vcc_lo, exec_lo, s64
	s_mov_b32 s2, -1
	s_cbranch_vccnz .LBB1_84
; %bb.78:                               ;   in Loop: Header=BB1_4 Depth=1
	s_and_saveexec_b32 s50, s1
	s_cbranch_execz .LBB1_83
; %bb.79:                               ;   in Loop: Header=BB1_4 Depth=1
	v_mov_b32_e32 v8, v1
	s_mov_b32 s51, 0
	s_branch .LBB1_81
.LBB1_80:                               ;   in Loop: Header=BB1_81 Depth=2
	v_add_nc_u32_e32 v8, s26, v8
	v_add_co_u32 v6, s2, v6, s40
	s_delay_alu instid0(VALU_DEP_1) | instskip(NEXT) | instid1(VALU_DEP_3)
	v_add_co_ci_u32_e64 v7, s2, s41, v7, s2
	v_cmp_le_i32_e32 vcc_lo, s19, v8
	s_waitcnt vmcnt(0)
	global_store_b64 v[9:10], v[11:12], off
	s_or_b32 s51, vcc_lo, s51
	s_delay_alu instid0(SALU_CYCLE_1)
	s_and_not1_b32 exec_lo, exec_lo, s51
	s_cbranch_execz .LBB1_83
.LBB1_81:                               ;   Parent Loop BB1_4 Depth=1
                                        ; =>  This Loop Header: Depth=2
                                        ;       Child Loop BB1_82 Depth 3
	s_delay_alu instid0(VALU_DEP_1) | instskip(SKIP_3) | instid1(VALU_DEP_2)
	v_ashrrev_i32_e32 v9, 31, v8
	v_dual_mov_b32 v14, v7 :: v_dual_mov_b32 v13, v6
	s_mov_b64 s[2:3], s[46:47]
	s_mov_b64 s[48:49], s[44:45]
	v_lshlrev_b64 v[9:10], 3, v[8:9]
	s_mov_b32 s78, s73
	s_delay_alu instid0(VALU_DEP_1) | instskip(NEXT) | instid1(VALU_DEP_2)
	v_add_co_u32 v9, vcc_lo, s76, v9
	v_add_co_ci_u32_e32 v10, vcc_lo, s77, v10, vcc_lo
	s_and_not1_b32 vcc_lo, exec_lo, s62
	global_load_b64 v[11:12], v[9:10], off
	s_cbranch_vccnz .LBB1_80
	.p2align	6
.LBB1_82:                               ;   Parent Loop BB1_4 Depth=1
                                        ;     Parent Loop BB1_81 Depth=2
                                        ; =>    This Inner Loop Header: Depth=3
	s_clause 0x1
	global_load_b64 v[15:16], v34, s[2:3]
	global_load_b64 v[35:36], v34, s[48:49]
	global_load_b64 v[37:38], v[13:14], off
	s_add_i32 s78, s78, -1
	s_add_u32 s48, s48, -8
	s_addc_u32 s49, s49, -1
	s_add_u32 s2, s2, -8
	s_addc_u32 s3, s3, -1
	s_cmp_lt_u32 s78, 3
	s_waitcnt vmcnt(2)
	v_mul_f64 v[39:40], v[11:12], v[15:16]
	s_waitcnt vmcnt(0)
	v_mul_f64 v[15:16], v[15:16], v[37:38]
	s_delay_alu instid0(VALU_DEP_2) | instskip(NEXT) | instid1(VALU_DEP_2)
	v_fma_f64 v[37:38], v[35:36], v[37:38], -v[39:40]
	v_fma_f64 v[11:12], v[11:12], v[35:36], v[15:16]
	global_store_b64 v[13:14], v[37:38], off
	v_add_co_u32 v13, vcc_lo, v13, s74
	v_add_co_ci_u32_e32 v14, vcc_lo, s75, v14, vcc_lo
	s_cbranch_scc0 .LBB1_82
	s_branch .LBB1_80
.LBB1_83:                               ;   in Loop: Header=BB1_4 Depth=1
	s_or_b32 exec_lo, exec_lo, s50
	s_mov_b32 s2, 0
.LBB1_84:                               ;   in Loop: Header=BB1_4 Depth=1
	s_delay_alu instid0(SALU_CYCLE_1)
	s_and_not1_b32 vcc_lo, exec_lo, s2
	s_cbranch_vccnz .LBB1_3
; %bb.85:                               ;   in Loop: Header=BB1_4 Depth=1
	s_and_not1_b32 vcc_lo, exec_lo, s65
	s_mov_b32 s2, -1
	s_cbranch_vccnz .LBB1_92
; %bb.86:                               ;   in Loop: Header=BB1_4 Depth=1
	s_and_saveexec_b32 s50, s1
	s_cbranch_execz .LBB1_91
; %bb.87:                               ;   in Loop: Header=BB1_4 Depth=1
	s_lshl_b64 s[2:3], s[28:29], 3
	v_mov_b32_e32 v6, v1
	s_add_u32 s51, s76, s2
	s_addc_u32 s78, s77, s3
	s_mov_b32 s79, 0
	s_branch .LBB1_89
.LBB1_88:                               ;   in Loop: Header=BB1_89 Depth=2
	v_add_nc_u32_e32 v6, s26, v6
	v_add_co_u32 v2, s2, v2, s40
	s_delay_alu instid0(VALU_DEP_1) | instskip(NEXT) | instid1(VALU_DEP_3)
	v_add_co_ci_u32_e64 v3, s2, s41, v3, s2
	v_cmp_le_i32_e32 vcc_lo, s19, v6
	s_waitcnt vmcnt(0)
	global_store_b64 v[7:8], v[9:10], off
	s_or_b32 s79, vcc_lo, s79
	s_delay_alu instid0(SALU_CYCLE_1)
	s_and_not1_b32 exec_lo, exec_lo, s79
	s_cbranch_execz .LBB1_91
.LBB1_89:                               ;   Parent Loop BB1_4 Depth=1
                                        ; =>  This Loop Header: Depth=2
                                        ;       Child Loop BB1_90 Depth 3
	v_ashrrev_i32_e32 v7, 31, v6
	v_dual_mov_b32 v12, v3 :: v_dual_mov_b32 v11, v2
	s_mov_b64 s[2:3], s[42:43]
	s_mov_b64 s[48:49], s[20:21]
	s_delay_alu instid0(VALU_DEP_2) | instskip(SKIP_1) | instid1(VALU_DEP_1)
	v_lshlrev_b64 v[7:8], 3, v[6:7]
	s_mov_b32 s80, s60
	v_add_co_u32 v7, vcc_lo, s51, v7
	s_delay_alu instid0(VALU_DEP_2)
	v_add_co_ci_u32_e32 v8, vcc_lo, s78, v8, vcc_lo
	s_and_not1_b32 vcc_lo, exec_lo, s62
	global_load_b64 v[9:10], v[7:8], off
	s_cbranch_vccnz .LBB1_88
	.p2align	6
.LBB1_90:                               ;   Parent Loop BB1_4 Depth=1
                                        ;     Parent Loop BB1_89 Depth=2
                                        ; =>    This Inner Loop Header: Depth=3
	global_load_b64 v[13:14], v[11:12], off
	s_clause 0x1
	global_load_b64 v[15:16], v34, s[48:49]
	global_load_b64 v[35:36], v34, s[2:3]
	s_add_i32 s80, s80, -1
	s_add_u32 s48, s48, 8
	s_addc_u32 s49, s49, 0
	s_add_u32 s2, s2, 8
	s_addc_u32 s3, s3, 0
	s_cmp_eq_u32 s80, 0
	s_waitcnt vmcnt(1)
	v_mul_f64 v[37:38], v[15:16], v[13:14]
	s_waitcnt vmcnt(0)
	v_mul_f64 v[13:14], v[35:36], v[13:14]
	s_delay_alu instid0(VALU_DEP_2) | instskip(NEXT) | instid1(VALU_DEP_2)
	v_fma_f64 v[35:36], v[9:10], v[35:36], v[37:38]
	v_fma_f64 v[9:10], v[9:10], v[15:16], -v[13:14]
	global_store_b64 v[11:12], v[35:36], off
	v_add_co_u32 v11, vcc_lo, v11, s38
	v_add_co_ci_u32_e32 v12, vcc_lo, s39, v12, vcc_lo
	s_cbranch_scc0 .LBB1_90
	s_branch .LBB1_88
.LBB1_91:                               ;   in Loop: Header=BB1_4 Depth=1
	s_or_b32 exec_lo, exec_lo, s50
	s_mov_b32 s2, 0
.LBB1_92:                               ;   in Loop: Header=BB1_4 Depth=1
	s_delay_alu instid0(SALU_CYCLE_1)
	s_and_not1_b32 vcc_lo, exec_lo, s2
	s_cbranch_vccnz .LBB1_3
; %bb.93:                               ;   in Loop: Header=BB1_4 Depth=1
	s_and_saveexec_b32 s42, s66
	s_cbranch_execz .LBB1_2
; %bb.94:                               ;   in Loop: Header=BB1_4 Depth=1
	s_lshl_b64 s[2:3], s[28:29], 3
	v_mov_b32_e32 v2, v1
	s_add_u32 s43, s76, s2
	s_addc_u32 s48, s77, s3
	s_mov_b32 s49, 0
	s_branch .LBB1_96
.LBB1_95:                               ;   in Loop: Header=BB1_96 Depth=2
	v_add_nc_u32_e32 v2, s26, v2
	v_add_co_u32 v4, s2, v4, s40
	s_delay_alu instid0(VALU_DEP_1) | instskip(NEXT) | instid1(VALU_DEP_3)
	v_add_co_ci_u32_e64 v5, s2, s41, v5, s2
	v_cmp_le_i32_e32 vcc_lo, s19, v2
	s_waitcnt vmcnt(0)
	global_store_b64 v[6:7], v[8:9], off
	s_or_b32 s49, vcc_lo, s49
	s_delay_alu instid0(SALU_CYCLE_1)
	s_and_not1_b32 exec_lo, exec_lo, s49
	s_cbranch_execz .LBB1_2
.LBB1_96:                               ;   Parent Loop BB1_4 Depth=1
                                        ; =>  This Loop Header: Depth=2
                                        ;       Child Loop BB1_97 Depth 3
	v_ashrrev_i32_e32 v3, 31, v2
	v_dual_mov_b32 v11, v5 :: v_dual_mov_b32 v10, v4
	s_mov_b64 s[2:3], s[46:47]
	s_mov_b64 s[20:21], s[44:45]
	s_delay_alu instid0(VALU_DEP_2) | instskip(SKIP_1) | instid1(VALU_DEP_1)
	v_lshlrev_b64 v[6:7], 3, v[2:3]
	s_mov_b32 s50, s60
	v_add_co_u32 v6, vcc_lo, s43, v6
	s_delay_alu instid0(VALU_DEP_2)
	v_add_co_ci_u32_e32 v7, vcc_lo, s48, v7, vcc_lo
	s_and_not1_b32 vcc_lo, exec_lo, s62
	global_load_b64 v[8:9], v[6:7], off
	s_cbranch_vccnz .LBB1_95
	.p2align	6
.LBB1_97:                               ;   Parent Loop BB1_4 Depth=1
                                        ;     Parent Loop BB1_96 Depth=2
                                        ; =>    This Inner Loop Header: Depth=3
	global_load_b64 v[12:13], v[10:11], off
	s_clause 0x1
	global_load_b64 v[14:15], v34, s[20:21]
	global_load_b64 v[35:36], v34, s[2:3]
	s_add_i32 s50, s50, -1
	s_add_u32 s20, s20, -8
	s_addc_u32 s21, s21, -1
	s_add_u32 s2, s2, -8
	s_addc_u32 s3, s3, -1
	s_cmp_eq_u32 s50, 0
	s_waitcnt vmcnt(1)
	v_mul_f64 v[37:38], v[14:15], v[12:13]
	s_waitcnt vmcnt(0)
	v_mul_f64 v[12:13], v[35:36], v[12:13]
	s_delay_alu instid0(VALU_DEP_2) | instskip(NEXT) | instid1(VALU_DEP_2)
	v_fma_f64 v[35:36], v[8:9], v[35:36], v[37:38]
	v_fma_f64 v[8:9], v[8:9], v[14:15], -v[12:13]
	global_store_b64 v[10:11], v[35:36], off
	v_add_co_u32 v10, vcc_lo, v10, s74
	v_add_co_ci_u32_e32 v11, vcc_lo, s75, v11, vcc_lo
	s_cbranch_scc0 .LBB1_97
	s_branch .LBB1_95
.LBB1_98:
	s_nop 0
	s_sendmsg sendmsg(MSG_DEALLOC_VGPRS)
	s_endpgm
	.section	.rodata,"a",@progbits
	.p2align	6, 0x0
	.amdhsa_kernel _ZN9rocsolver6v33100L11lasr_kernelIddPdiEEv13rocblas_side_14rocblas_pivot_15rocblas_direct_T2_S6_PT0_lS8_lT1_lS6_lS6_
		.amdhsa_group_segment_fixed_size 0
		.amdhsa_private_segment_fixed_size 0
		.amdhsa_kernarg_size 352
		.amdhsa_user_sgpr_count 14
		.amdhsa_user_sgpr_dispatch_ptr 0
		.amdhsa_user_sgpr_queue_ptr 0
		.amdhsa_user_sgpr_kernarg_segment_ptr 1
		.amdhsa_user_sgpr_dispatch_id 0
		.amdhsa_user_sgpr_private_segment_size 0
		.amdhsa_wavefront_size32 1
		.amdhsa_uses_dynamic_stack 0
		.amdhsa_enable_private_segment 0
		.amdhsa_system_sgpr_workgroup_id_x 1
		.amdhsa_system_sgpr_workgroup_id_y 0
		.amdhsa_system_sgpr_workgroup_id_z 1
		.amdhsa_system_sgpr_workgroup_info 0
		.amdhsa_system_vgpr_workitem_id 0
		.amdhsa_next_free_vgpr 43
		.amdhsa_next_free_sgpr 87
		.amdhsa_reserve_vcc 1
		.amdhsa_float_round_mode_32 0
		.amdhsa_float_round_mode_16_64 0
		.amdhsa_float_denorm_mode_32 3
		.amdhsa_float_denorm_mode_16_64 3
		.amdhsa_dx10_clamp 1
		.amdhsa_ieee_mode 1
		.amdhsa_fp16_overflow 0
		.amdhsa_workgroup_processor_mode 1
		.amdhsa_memory_ordered 1
		.amdhsa_forward_progress 0
		.amdhsa_shared_vgpr_count 0
		.amdhsa_exception_fp_ieee_invalid_op 0
		.amdhsa_exception_fp_denorm_src 0
		.amdhsa_exception_fp_ieee_div_zero 0
		.amdhsa_exception_fp_ieee_overflow 0
		.amdhsa_exception_fp_ieee_underflow 0
		.amdhsa_exception_fp_ieee_inexact 0
		.amdhsa_exception_int_div_zero 0
	.end_amdhsa_kernel
	.section	.text._ZN9rocsolver6v33100L11lasr_kernelIddPdiEEv13rocblas_side_14rocblas_pivot_15rocblas_direct_T2_S6_PT0_lS8_lT1_lS6_lS6_,"axG",@progbits,_ZN9rocsolver6v33100L11lasr_kernelIddPdiEEv13rocblas_side_14rocblas_pivot_15rocblas_direct_T2_S6_PT0_lS8_lT1_lS6_lS6_,comdat
.Lfunc_end1:
	.size	_ZN9rocsolver6v33100L11lasr_kernelIddPdiEEv13rocblas_side_14rocblas_pivot_15rocblas_direct_T2_S6_PT0_lS8_lT1_lS6_lS6_, .Lfunc_end1-_ZN9rocsolver6v33100L11lasr_kernelIddPdiEEv13rocblas_side_14rocblas_pivot_15rocblas_direct_T2_S6_PT0_lS8_lT1_lS6_lS6_
                                        ; -- End function
	.section	.AMDGPU.csdata,"",@progbits
; Kernel info:
; codeLenInByte = 4836
; NumSgprs: 89
; NumVgprs: 43
; ScratchSize: 0
; MemoryBound: 0
; FloatMode: 240
; IeeeMode: 1
; LDSByteSize: 0 bytes/workgroup (compile time only)
; SGPRBlocks: 11
; VGPRBlocks: 5
; NumSGPRsForWavesPerEU: 89
; NumVGPRsForWavesPerEU: 43
; Occupancy: 16
; WaveLimiterHint : 0
; COMPUTE_PGM_RSRC2:SCRATCH_EN: 0
; COMPUTE_PGM_RSRC2:USER_SGPR: 14
; COMPUTE_PGM_RSRC2:TRAP_HANDLER: 0
; COMPUTE_PGM_RSRC2:TGID_X_EN: 1
; COMPUTE_PGM_RSRC2:TGID_Y_EN: 0
; COMPUTE_PGM_RSRC2:TGID_Z_EN: 1
; COMPUTE_PGM_RSRC2:TIDIG_COMP_CNT: 0
	.section	.text._ZN9rocsolver6v33100L11lasr_kernelI19rocblas_complex_numIfEfPS3_iEEv13rocblas_side_14rocblas_pivot_15rocblas_direct_T2_S8_PT0_lSA_lT1_lS8_lS8_,"axG",@progbits,_ZN9rocsolver6v33100L11lasr_kernelI19rocblas_complex_numIfEfPS3_iEEv13rocblas_side_14rocblas_pivot_15rocblas_direct_T2_S8_PT0_lSA_lT1_lS8_lS8_,comdat
	.globl	_ZN9rocsolver6v33100L11lasr_kernelI19rocblas_complex_numIfEfPS3_iEEv13rocblas_side_14rocblas_pivot_15rocblas_direct_T2_S8_PT0_lSA_lT1_lS8_lS8_ ; -- Begin function _ZN9rocsolver6v33100L11lasr_kernelI19rocblas_complex_numIfEfPS3_iEEv13rocblas_side_14rocblas_pivot_15rocblas_direct_T2_S8_PT0_lSA_lT1_lS8_lS8_
	.p2align	8
	.type	_ZN9rocsolver6v33100L11lasr_kernelI19rocblas_complex_numIfEfPS3_iEEv13rocblas_side_14rocblas_pivot_15rocblas_direct_T2_S8_PT0_lSA_lT1_lS8_lS8_,@function
_ZN9rocsolver6v33100L11lasr_kernelI19rocblas_complex_numIfEfPS3_iEEv13rocblas_side_14rocblas_pivot_15rocblas_direct_T2_S8_PT0_lSA_lT1_lS8_lS8_: ; @_ZN9rocsolver6v33100L11lasr_kernelI19rocblas_complex_numIfEfPS3_iEEv13rocblas_side_14rocblas_pivot_15rocblas_direct_T2_S8_PT0_lSA_lT1_lS8_lS8_
; %bb.0:
	s_load_b32 s33, s[0:1], 0x58
	s_waitcnt lgkmcnt(0)
	s_cmp_ge_u32 s15, s33
	s_cbranch_scc1 .LBB2_98
; %bb.1:
	s_clause 0x5
	s_load_b32 s12, s[0:1], 0x48
	s_load_b128 s[20:23], s[0:1], 0x38
	s_load_b64 s[24:25], s[0:1], 0x68
	s_load_b128 s[16:19], s[0:1], 0x0
	s_load_b32 s52, s[0:1], 0x10
	s_load_b32 s28, s[0:1], 0x60
	s_mov_b32 s43, 0
	v_mov_b32_e32 v36, 0
	s_mov_b32 s45, s43
	s_waitcnt lgkmcnt(0)
	s_ashr_i32 s13, s12, 31
	s_lshl_b64 s[2:3], s[22:23], 3
	s_and_b32 s26, s25, 0xffff
	s_add_u32 s25, s20, s2
	s_addc_u32 s53, s21, s3
	s_cmpk_lg_i32 s16, 0x8d
	v_mad_u64_u32 v[1:2], null, s14, s26, v[0:1]
	s_cselect_b32 s27, -1, 0
	s_cmpk_lg_i32 s16, 0x8e
	s_mov_b32 s22, s19
	s_cselect_b32 s30, -1, 0
	s_cmpk_lg_i32 s17, 0x119
	s_cselect_b32 s29, -1, 0
	s_cmpk_lg_i32 s17, 0x11b
	v_mad_i64_i32 v[2:3], null, s12, v1, 0
	s_cselect_b32 s31, -1, 0
	s_cmpk_lg_i32 s17, 0x11a
	s_load_b64 s[16:17], s[0:1], 0x50
	s_cselect_b32 s34, -1, 0
	s_cmpk_lg_i32 s18, 0xab
	s_mul_i32 s26, s28, s26
	s_cselect_b32 s35, -1, 0
	s_or_b32 s36, s27, s29
	s_ashr_i32 s23, s19, 31
	s_or_b32 s4, s36, s35
	s_add_i32 s42, s19, -2
	s_xor_b32 s14, s4, -1
	s_cmpk_lg_i32 s18, 0xac
	s_load_b256 s[4:11], s[0:1], 0x18
	s_cselect_b32 s37, -1, 0
	v_cmp_le_i32_e32 vcc_lo, s19, v1
	s_or_b32 s0, s36, s37
	v_lshlrev_b64 v[2:3], 3, v[2:3]
	s_xor_b32 s18, s0, -1
	s_cmp_gt_i32 s19, 1
	v_cmp_gt_i32_e64 s0, s52, v1
	s_cselect_b32 s54, -1, 0
	s_or_b32 s1, s27, s34
	s_or_b32 s27, s27, s31
	;; [unrolled: 1-line block ×9, first 2 shown]
	s_xor_b32 s55, s29, -1
	s_xor_b32 s56, s1, -1
	;; [unrolled: 1-line block ×5, first 2 shown]
	s_add_i32 s60, s52, -1
	s_xor_b32 s61, s28, -1
	s_add_i32 s44, s52, -2
	s_cmp_gt_i32 s52, 1
	s_mul_i32 s36, s12, s26
	s_cselect_b32 s62, -1, 0
	s_or_b32 s27, s30, s34
	s_or_b32 s30, s30, s31
	;; [unrolled: 1-line block ×4, first 2 shown]
	s_or_b32 s31, s37, vcc_lo
	s_xor_b32 s64, s27, -1
	s_or_b32 s27, s30, s35
	v_add_co_u32 v4, vcc_lo, s25, v2
	s_xor_b32 s65, s27, -1
	s_or_b32 s27, s30, s31
	s_mul_hi_i32 s37, s12, s26
	s_lshl_b64 s[38:39], s[42:43], 2
	s_xor_b32 s63, s34, -1
	s_xor_b32 s66, s27, -1
	s_add_i32 s30, s19, -1
	s_waitcnt lgkmcnt(0)
	s_lshl_b64 s[10:11], s[10:11], 2
	s_lshl_b64 s[6:7], s[6:7], 2
	v_add_co_ci_u32_e32 v3, vcc_lo, s53, v3, vcc_lo
	s_lshl_b64 s[34:35], s[16:17], 3
	s_ashr_i32 s27, s26, 31
	s_lshl_b64 s[36:37], s[36:37], 3
	s_add_u32 s67, s4, s38
	s_addc_u32 s68, s5, s39
	v_add_co_u32 v0, vcc_lo, v4, 12
	s_add_u32 s69, s8, s38
	s_addc_u32 s70, s9, s39
	s_lshl_b64 s[38:39], s[42:43], 3
	v_add_co_ci_u32_e32 v15, vcc_lo, 0, v3, vcc_lo
	v_add_co_u32 v16, vcc_lo, v4, s38
	v_add_co_ci_u32_e32 v17, vcc_lo, s39, v3, vcc_lo
	v_add_co_u32 v18, vcc_lo, v4, 8
	v_add_co_ci_u32_e32 v19, vcc_lo, 0, v3, vcc_lo
	v_ashrrev_i32_e32 v2, 31, v1
	v_add_co_u32 v20, vcc_lo, v4, 4
	s_mov_b32 s31, s43
	v_add_co_ci_u32_e32 v21, vcc_lo, 0, v3, vcc_lo
	s_lshl_b64 s[38:39], s[30:31], 3
	v_lshlrev_b64 v[2:3], 3, v[1:2]
	v_add_co_u32 v22, vcc_lo, v20, s38
	s_mul_i32 s31, s13, s44
	s_mul_hi_u32 s38, s12, s44
	v_add_co_ci_u32_e32 v23, vcc_lo, s39, v21, vcc_lo
	s_add_i32 s41, s38, s31
	s_mul_i32 s40, s12, s44
	v_add_co_u32 v24, vcc_lo, v16, 4
	s_lshl_b64 s[46:47], s[40:41], 3
	s_add_i32 s71, s19, 1
	v_add_co_ci_u32_e32 v25, vcc_lo, 0, v17, vcc_lo
	s_lshl_b64 s[38:39], s[26:27], 3
	s_lshl_b64 s[40:41], s[12:13], 3
	v_add_co_u32 v4, vcc_lo, s25, v2
	s_add_u32 s27, s46, s2
	s_mul_i32 s28, s12, s60
	s_addc_u32 s31, s47, s3
	s_mul_i32 s13, s13, s60
	s_mul_hi_u32 s42, s12, s60
	v_add_co_ci_u32_e32 v5, vcc_lo, s53, v3, vcc_lo
	s_add_u32 s27, s20, s27
	s_addc_u32 s31, s21, s31
	s_add_i32 s47, s42, s13
	s_mov_b32 s46, s28
	v_add_co_u32 v26, vcc_lo, v4, 4
	s_lshl_b64 s[42:43], s[46:47], 3
	v_add_co_ci_u32_e32 v27, vcc_lo, 0, v5, vcc_lo
	s_add_u32 s13, s42, s2
	v_add_co_u32 v28, vcc_lo, s27, v2
	s_addc_u32 s27, s43, s3
	s_add_u32 s13, s20, s13
	v_add_co_ci_u32_e32 v29, vcc_lo, s31, v3, vcc_lo
	s_addc_u32 s27, s21, s27
	s_lshl_b64 s[42:43], s[44:45], 2
	v_add_co_u32 v4, vcc_lo, s13, v2
	s_add_u32 s13, s4, s42
	v_add_co_ci_u32_e32 v5, vcc_lo, s27, v3, vcc_lo
	s_addc_u32 s27, s5, s43
	s_add_u32 s31, s8, s42
	s_addc_u32 s72, s9, s43
	s_add_u32 s2, s2, s40
	;; [unrolled: 2-line block ×3, first 2 shown]
	s_addc_u32 s3, s21, s3
	v_add_co_u32 v2, vcc_lo, s2, v2
	v_add_co_ci_u32_e32 v3, vcc_lo, s3, v3, vcc_lo
	v_add_co_u32 v30, vcc_lo, v4, 4
	v_add_co_ci_u32_e32 v31, vcc_lo, 0, v5, vcc_lo
	s_delay_alu instid0(VALU_DEP_4) | instskip(NEXT) | instid1(VALU_DEP_4)
	v_add_co_u32 v32, vcc_lo, v2, 4
	v_add_co_ci_u32_e32 v33, vcc_lo, 0, v3, vcc_lo
	v_add_co_u32 v34, vcc_lo, v28, 4
	v_cmp_gt_i32_e64 s1, s19, v1
	v_add_co_ci_u32_e32 v35, vcc_lo, 0, v29, vcc_lo
	s_add_i32 s73, s52, 1
	s_sub_u32 s74, 0, s40
	s_mul_hi_i32 s29, s12, s60
	s_subb_u32 s75, 0, s41
	s_branch .LBB2_4
.LBB2_2:                                ;   in Loop: Header=BB2_4 Depth=1
	s_or_b32 exec_lo, exec_lo, s42
.LBB2_3:                                ;   in Loop: Header=BB2_4 Depth=1
	s_add_i32 s15, s15, s24
	s_delay_alu instid0(SALU_CYCLE_1)
	s_cmp_ge_u32 s15, s33
	s_cbranch_scc1 .LBB2_98
.LBB2_4:                                ; =>This Loop Header: Depth=1
                                        ;     Child Loop BB2_8 Depth 2
                                        ;       Child Loop BB2_9 Depth 3
                                        ;     Child Loop BB2_16 Depth 2
                                        ;       Child Loop BB2_17 Depth 3
	;; [unrolled: 2-line block ×12, first 2 shown]
	s_mul_i32 s2, s7, s15
	s_mul_hi_u32 s3, s6, s15
	s_mul_hi_u32 s76, s34, s15
	s_add_i32 s50, s3, s2
	s_mul_i32 s2, s11, s15
	s_mul_hi_u32 s3, s10, s15
	s_mul_i32 s80, s6, s15
	s_add_i32 s51, s3, s2
	s_mul_i32 s2, s35, s15
	s_mul_i32 s81, s10, s15
	s_add_i32 s76, s76, s2
	s_add_u32 s20, s4, s80
	s_addc_u32 s21, s5, s50
	s_mul_i32 s2, s15, s17
	s_mul_hi_u32 s3, s15, s16
	s_add_u32 s42, s8, s81
	s_addc_u32 s43, s9, s51
	s_add_i32 s3, s3, s2
	s_mul_i32 s2, s15, s16
	s_mul_i32 s79, s34, s15
	s_lshl_b64 s[2:3], s[2:3], 3
	s_delay_alu instid0(SALU_CYCLE_1)
	s_add_u32 s77, s25, s2
	s_addc_u32 s78, s53, s3
	s_and_not1_b32 vcc_lo, exec_lo, s14
	s_mov_b32 s2, -1
	s_cbranch_vccnz .LBB2_11
; %bb.5:                                ;   in Loop: Header=BB2_4 Depth=1
	s_and_saveexec_b32 s46, s0
	s_cbranch_execz .LBB2_10
; %bb.6:                                ;   in Loop: Header=BB2_4 Depth=1
	v_add_co_u32 v2, vcc_lo, v0, s79
	v_add_co_ci_u32_e32 v3, vcc_lo, s76, v15, vcc_lo
	s_lshl_b64 s[2:3], s[22:23], 3
	v_mov_b32_e32 v10, v1
	s_add_u32 s47, s77, s2
	s_addc_u32 s48, s78, s3
	s_mov_b32 s49, 0
	s_branch .LBB2_8
.LBB2_7:                                ;   in Loop: Header=BB2_8 Depth=2
	v_add_nc_u32_e32 v10, s26, v10
	v_add_co_u32 v4, vcc_lo, s47, v4
	v_add_co_ci_u32_e32 v5, vcc_lo, s48, v5, vcc_lo
	s_delay_alu instid0(VALU_DEP_3) | instskip(SKIP_1) | instid1(VALU_DEP_1)
	v_cmp_le_i32_e32 vcc_lo, s52, v10
	v_add_co_u32 v2, s2, v2, s36
	v_add_co_ci_u32_e64 v3, s2, s37, v3, s2
	s_or_b32 s49, vcc_lo, s49
	s_waitcnt vmcnt(0)
	global_store_b64 v[4:5], v[6:7], off offset:-8
	s_and_not1_b32 exec_lo, exec_lo, s49
	s_cbranch_execz .LBB2_10
.LBB2_8:                                ;   Parent Loop BB2_4 Depth=1
                                        ; =>  This Loop Header: Depth=2
                                        ;       Child Loop BB2_9 Depth 3
	v_mad_i64_i32 v[4:5], null, v10, s12, 0
	v_dual_mov_b32 v9, v3 :: v_dual_mov_b32 v8, v2
	s_mov_b64 s[2:3], s[20:21]
	s_mov_b64 s[44:45], s[42:43]
	s_mov_b32 s82, s30
	s_delay_alu instid0(VALU_DEP_2) | instskip(NEXT) | instid1(VALU_DEP_1)
	v_lshlrev_b64 v[4:5], 3, v[4:5]
	v_add_co_u32 v6, vcc_lo, s77, v4
	s_delay_alu instid0(VALU_DEP_2)
	v_add_co_ci_u32_e32 v7, vcc_lo, s78, v5, vcc_lo
	s_and_not1_b32 vcc_lo, exec_lo, s54
	global_load_b64 v[6:7], v[6:7], off
	s_cbranch_vccnz .LBB2_7
	.p2align	6
.LBB2_9:                                ;   Parent Loop BB2_4 Depth=1
                                        ;     Parent Loop BB2_8 Depth=2
                                        ; =>    This Inner Loop Header: Depth=3
	global_load_b32 v37, v36, s[44:45]
	global_load_b64 v[11:12], v[8:9], off offset:-4
	global_load_b32 v38, v36, s[2:3]
	s_add_i32 s82, s82, -1
	s_add_u32 s44, s44, 4
	s_addc_u32 s45, s45, 0
	s_add_u32 s2, s2, 4
	s_addc_u32 s3, s3, 0
	s_cmp_eq_u32 s82, 0
	s_waitcnt vmcnt(1)
	v_dual_mul_f32 v39, v6, v37 :: v_dual_mul_f32 v14, v37, v12
	v_mul_f32_e32 v13, v37, v11
	v_mul_f32_e32 v37, v7, v37
	s_waitcnt vmcnt(0)
	s_delay_alu instid0(VALU_DEP_3) | instskip(NEXT) | instid1(VALU_DEP_3)
	v_fmac_f32_e32 v14, v7, v38
	v_fmac_f32_e32 v13, v6, v38
	v_fma_f32 v6, v38, v11, -v39
	v_fma_f32 v7, v38, v12, -v37
	global_store_b64 v[8:9], v[13:14], off offset:-12
	v_add_co_u32 v8, vcc_lo, v8, 8
	v_add_co_ci_u32_e32 v9, vcc_lo, 0, v9, vcc_lo
	s_cbranch_scc0 .LBB2_9
	s_branch .LBB2_7
.LBB2_10:                               ;   in Loop: Header=BB2_4 Depth=1
	s_or_b32 exec_lo, exec_lo, s46
	s_mov_b32 s2, 0
.LBB2_11:                               ;   in Loop: Header=BB2_4 Depth=1
	s_delay_alu instid0(SALU_CYCLE_1)
	s_and_not1_b32 vcc_lo, exec_lo, s2
	s_cbranch_vccnz .LBB2_3
; %bb.12:                               ;   in Loop: Header=BB2_4 Depth=1
	s_add_u32 s44, s67, s80
	s_addc_u32 s45, s68, s50
	s_add_u32 s46, s69, s81
	s_addc_u32 s47, s70, s51
	s_and_not1_b32 vcc_lo, exec_lo, s18
	s_mov_b32 s2, -1
	s_cbranch_vccnz .LBB2_19
; %bb.13:                               ;   in Loop: Header=BB2_4 Depth=1
	s_and_saveexec_b32 s82, s0
	s_cbranch_execz .LBB2_18
; %bb.14:                               ;   in Loop: Header=BB2_4 Depth=1
	v_add_co_u32 v2, vcc_lo, v16, s79
	v_add_co_ci_u32_e32 v3, vcc_lo, s76, v17, vcc_lo
	s_lshl_b64 s[2:3], s[22:23], 3
	v_mov_b32_e32 v10, v1
	s_add_u32 s83, s77, s2
	s_addc_u32 s84, s78, s3
	s_mov_b32 s85, 0
	s_branch .LBB2_16
.LBB2_15:                               ;   in Loop: Header=BB2_16 Depth=2
	v_add_nc_u32_e32 v10, s26, v10
	v_add_co_u32 v4, vcc_lo, s77, v4
	v_add_co_ci_u32_e32 v5, vcc_lo, s78, v5, vcc_lo
	s_delay_alu instid0(VALU_DEP_3) | instskip(SKIP_1) | instid1(VALU_DEP_1)
	v_cmp_le_i32_e32 vcc_lo, s52, v10
	v_add_co_u32 v2, s2, v2, s36
	v_add_co_ci_u32_e64 v3, s2, s37, v3, s2
	s_or_b32 s85, vcc_lo, s85
	s_waitcnt vmcnt(0)
	global_store_b64 v[4:5], v[6:7], off
	s_and_not1_b32 exec_lo, exec_lo, s85
	s_cbranch_execz .LBB2_18
.LBB2_16:                               ;   Parent Loop BB2_4 Depth=1
                                        ; =>  This Loop Header: Depth=2
                                        ;       Child Loop BB2_17 Depth 3
	v_mad_i64_i32 v[4:5], null, v10, s12, 0
	v_dual_mov_b32 v9, v3 :: v_dual_mov_b32 v8, v2
	s_mov_b64 s[2:3], s[46:47]
	s_mov_b64 s[48:49], s[44:45]
	s_mov_b32 s86, s30
	s_delay_alu instid0(VALU_DEP_2) | instskip(NEXT) | instid1(VALU_DEP_1)
	v_lshlrev_b64 v[4:5], 3, v[4:5]
	v_add_co_u32 v6, vcc_lo, s83, v4
	s_delay_alu instid0(VALU_DEP_2)
	v_add_co_ci_u32_e32 v7, vcc_lo, s84, v5, vcc_lo
	s_and_not1_b32 vcc_lo, exec_lo, s54
	global_load_b64 v[6:7], v[6:7], off offset:-8
	s_cbranch_vccnz .LBB2_15
	.p2align	6
.LBB2_17:                               ;   Parent Loop BB2_4 Depth=1
                                        ;     Parent Loop BB2_16 Depth=2
                                        ; =>    This Inner Loop Header: Depth=3
	global_load_b32 v13, v36, s[2:3]
	global_load_b64 v[11:12], v[8:9], off
	global_load_b32 v14, v36, s[48:49]
	s_waitcnt vmcnt(3)
	v_dual_mov_b32 v37, v7 :: v_dual_mov_b32 v38, v6
	s_add_i32 s86, s86, -1
	s_add_u32 s48, s48, -4
	s_addc_u32 s49, s49, -1
	s_add_u32 s2, s2, -4
	s_addc_u32 s3, s3, -1
	s_cmp_eq_u32 s86, 0
	s_waitcnt vmcnt(1)
	v_mul_f32_e32 v40, v13, v12
	s_waitcnt vmcnt(0)
	v_mul_f32_e32 v7, v14, v12
	v_mul_f32_e32 v6, v14, v11
	s_delay_alu instid0(VALU_DEP_3) | instskip(NEXT) | instid1(VALU_DEP_3)
	v_fma_f32 v12, v37, v14, -v40
	v_fmac_f32_e32 v7, v37, v13
	s_delay_alu instid0(VALU_DEP_3) | instskip(NEXT) | instid1(VALU_DEP_1)
	v_dual_mul_f32 v39, v13, v11 :: v_dual_fmac_f32 v6, v38, v13
	v_fma_f32 v11, v38, v14, -v39
	global_store_b64 v[8:9], v[11:12], off offset:8
	v_add_co_u32 v8, vcc_lo, v8, -8
	v_add_co_ci_u32_e32 v9, vcc_lo, -1, v9, vcc_lo
	s_cbranch_scc0 .LBB2_17
	s_branch .LBB2_15
.LBB2_18:                               ;   in Loop: Header=BB2_4 Depth=1
	s_or_b32 exec_lo, exec_lo, s82
	s_mov_b32 s2, 0
.LBB2_19:                               ;   in Loop: Header=BB2_4 Depth=1
	s_delay_alu instid0(SALU_CYCLE_1)
	s_and_not1_b32 vcc_lo, exec_lo, s2
	s_cbranch_vccnz .LBB2_3
; %bb.20:                               ;   in Loop: Header=BB2_4 Depth=1
	s_and_not1_b32 vcc_lo, exec_lo, s55
	s_mov_b32 s2, -1
	s_cbranch_vccnz .LBB2_27
; %bb.21:                               ;   in Loop: Header=BB2_4 Depth=1
	s_and_saveexec_b32 s82, s0
	s_cbranch_execz .LBB2_26
; %bb.22:                               ;   in Loop: Header=BB2_4 Depth=1
	v_add_co_u32 v2, vcc_lo, v18, s79
	v_add_co_ci_u32_e32 v3, vcc_lo, s76, v19, vcc_lo
	v_mov_b32_e32 v10, v1
	s_mov_b32 s83, 0
	s_branch .LBB2_24
.LBB2_23:                               ;   in Loop: Header=BB2_24 Depth=2
	v_add_nc_u32_e32 v10, s26, v10
	v_add_co_u32 v2, s2, v2, s36
	s_delay_alu instid0(VALU_DEP_1) | instskip(NEXT) | instid1(VALU_DEP_3)
	v_add_co_ci_u32_e64 v3, s2, s37, v3, s2
	v_cmp_le_i32_e32 vcc_lo, s52, v10
	s_waitcnt vmcnt(0)
	global_store_b64 v[4:5], v[6:7], off
	s_or_b32 s83, vcc_lo, s83
	s_delay_alu instid0(SALU_CYCLE_1)
	s_and_not1_b32 exec_lo, exec_lo, s83
	s_cbranch_execz .LBB2_26
.LBB2_24:                               ;   Parent Loop BB2_4 Depth=1
                                        ; =>  This Loop Header: Depth=2
                                        ;       Child Loop BB2_25 Depth 3
	s_delay_alu instid0(VALU_DEP_1) | instskip(SKIP_4) | instid1(VALU_DEP_2)
	v_mad_i64_i32 v[4:5], null, v10, s12, 0
	v_dual_mov_b32 v9, v3 :: v_dual_mov_b32 v8, v2
	s_mov_b32 s84, s30
	s_mov_b64 s[2:3], s[20:21]
	s_mov_b64 s[48:49], s[42:43]
	v_lshlrev_b64 v[4:5], 3, v[4:5]
	s_delay_alu instid0(VALU_DEP_1) | instskip(NEXT) | instid1(VALU_DEP_2)
	v_add_co_u32 v4, vcc_lo, s77, v4
	v_add_co_ci_u32_e32 v5, vcc_lo, s78, v5, vcc_lo
	s_and_not1_b32 vcc_lo, exec_lo, s54
	global_load_b64 v[6:7], v[4:5], off
	s_cbranch_vccnz .LBB2_23
	.p2align	6
.LBB2_25:                               ;   Parent Loop BB2_4 Depth=1
                                        ;     Parent Loop BB2_24 Depth=2
                                        ; =>    This Inner Loop Header: Depth=3
	s_clause 0x1
	global_load_b32 v13, v36, s[48:49]
	global_load_b32 v14, v36, s[2:3]
	global_load_b64 v[11:12], v[8:9], off
	s_waitcnt vmcnt(3)
	v_dual_mov_b32 v37, v7 :: v_dual_mov_b32 v38, v6
	s_add_u32 s48, s48, 4
	s_addc_u32 s49, s49, 0
	s_add_u32 s2, s2, 4
	s_addc_u32 s3, s3, 0
	s_add_i32 s84, s84, -1
	s_delay_alu instid0(SALU_CYCLE_1)
	s_cmp_eq_u32 s84, 0
	s_waitcnt vmcnt(2)
	v_mul_f32_e32 v39, v38, v13
	v_mul_f32_e32 v40, v37, v13
	s_waitcnt vmcnt(0)
	v_mul_f32_e32 v6, v13, v11
	v_mul_f32_e32 v7, v13, v12
	v_fma_f32 v11, v14, v11, -v39
	v_fma_f32 v12, v14, v12, -v40
	s_delay_alu instid0(VALU_DEP_4) | instskip(NEXT) | instid1(VALU_DEP_4)
	v_fmac_f32_e32 v6, v38, v14
	v_fmac_f32_e32 v7, v37, v14
	global_store_b64 v[8:9], v[11:12], off
	v_add_co_u32 v8, vcc_lo, v8, 8
	v_add_co_ci_u32_e32 v9, vcc_lo, 0, v9, vcc_lo
	s_cbranch_scc0 .LBB2_25
	s_branch .LBB2_23
.LBB2_26:                               ;   in Loop: Header=BB2_4 Depth=1
	s_or_b32 exec_lo, exec_lo, s82
	s_mov_b32 s2, 0
.LBB2_27:                               ;   in Loop: Header=BB2_4 Depth=1
	s_delay_alu instid0(SALU_CYCLE_1)
	s_and_not1_b32 vcc_lo, exec_lo, s2
	s_cbranch_vccnz .LBB2_3
; %bb.28:                               ;   in Loop: Header=BB2_4 Depth=1
	s_and_not1_b32 vcc_lo, exec_lo, s56
	s_mov_b32 s2, -1
	s_cbranch_vccnz .LBB2_35
; %bb.29:                               ;   in Loop: Header=BB2_4 Depth=1
	s_and_saveexec_b32 s82, s0
	s_cbranch_execz .LBB2_34
; %bb.30:                               ;   in Loop: Header=BB2_4 Depth=1
	v_add_co_u32 v2, vcc_lo, v22, s79
	v_add_co_ci_u32_e32 v3, vcc_lo, s76, v23, vcc_lo
	v_mov_b32_e32 v10, v1
	s_mov_b32 s83, 0
	s_branch .LBB2_32
.LBB2_31:                               ;   in Loop: Header=BB2_32 Depth=2
	v_add_nc_u32_e32 v10, s26, v10
	v_add_co_u32 v2, s2, v2, s36
	s_delay_alu instid0(VALU_DEP_1) | instskip(NEXT) | instid1(VALU_DEP_3)
	v_add_co_ci_u32_e64 v3, s2, s37, v3, s2
	v_cmp_le_i32_e32 vcc_lo, s52, v10
	s_waitcnt vmcnt(0)
	global_store_b64 v[4:5], v[6:7], off
	s_or_b32 s83, vcc_lo, s83
	s_delay_alu instid0(SALU_CYCLE_1)
	s_and_not1_b32 exec_lo, exec_lo, s83
	s_cbranch_execz .LBB2_34
.LBB2_32:                               ;   Parent Loop BB2_4 Depth=1
                                        ; =>  This Loop Header: Depth=2
                                        ;       Child Loop BB2_33 Depth 3
	s_delay_alu instid0(VALU_DEP_1) | instskip(SKIP_4) | instid1(VALU_DEP_2)
	v_mad_i64_i32 v[4:5], null, v10, s12, 0
	v_dual_mov_b32 v9, v3 :: v_dual_mov_b32 v8, v2
	s_mov_b64 s[2:3], s[46:47]
	s_mov_b64 s[48:49], s[44:45]
	s_mov_b32 s84, s71
	v_lshlrev_b64 v[4:5], 3, v[4:5]
	s_delay_alu instid0(VALU_DEP_1) | instskip(NEXT) | instid1(VALU_DEP_2)
	v_add_co_u32 v4, vcc_lo, s77, v4
	v_add_co_ci_u32_e32 v5, vcc_lo, s78, v5, vcc_lo
	s_and_not1_b32 vcc_lo, exec_lo, s54
	global_load_b64 v[6:7], v[4:5], off
	s_cbranch_vccnz .LBB2_31
	.p2align	6
.LBB2_33:                               ;   Parent Loop BB2_4 Depth=1
                                        ;     Parent Loop BB2_32 Depth=2
                                        ; =>    This Inner Loop Header: Depth=3
	s_clause 0x1
	global_load_b32 v13, v36, s[2:3]
	global_load_b32 v14, v36, s[48:49]
	global_load_b64 v[11:12], v[8:9], off offset:-4
	s_waitcnt vmcnt(3)
	v_dual_mov_b32 v37, v7 :: v_dual_mov_b32 v38, v6
	s_add_i32 s84, s84, -1
	s_add_u32 s48, s48, -4
	s_addc_u32 s49, s49, -1
	s_add_u32 s2, s2, -4
	s_addc_u32 s3, s3, -1
	s_cmp_lt_u32 s84, 3
	s_waitcnt vmcnt(2)
	v_mul_f32_e32 v39, v38, v13
	v_mul_f32_e32 v40, v37, v13
	s_waitcnt vmcnt(0)
	v_mul_f32_e32 v6, v13, v11
	v_mul_f32_e32 v7, v13, v12
	v_fma_f32 v11, v14, v11, -v39
	v_fma_f32 v12, v14, v12, -v40
	s_delay_alu instid0(VALU_DEP_4) | instskip(NEXT) | instid1(VALU_DEP_4)
	v_fmac_f32_e32 v6, v38, v14
	v_fmac_f32_e32 v7, v37, v14
	global_store_b64 v[8:9], v[11:12], off offset:-4
	v_add_co_u32 v8, vcc_lo, v8, -8
	v_add_co_ci_u32_e32 v9, vcc_lo, -1, v9, vcc_lo
	s_cbranch_scc0 .LBB2_33
	s_branch .LBB2_31
.LBB2_34:                               ;   in Loop: Header=BB2_4 Depth=1
	s_or_b32 exec_lo, exec_lo, s82
	s_mov_b32 s2, 0
.LBB2_35:                               ;   in Loop: Header=BB2_4 Depth=1
	s_delay_alu instid0(SALU_CYCLE_1)
	s_and_not1_b32 vcc_lo, exec_lo, s2
	s_cbranch_vccnz .LBB2_3
; %bb.36:                               ;   in Loop: Header=BB2_4 Depth=1
	s_and_not1_b32 vcc_lo, exec_lo, s57
	s_mov_b32 s2, -1
	s_cbranch_vccnz .LBB2_43
; %bb.37:                               ;   in Loop: Header=BB2_4 Depth=1
	s_and_saveexec_b32 s82, s0
	s_cbranch_execz .LBB2_42
; %bb.38:                               ;   in Loop: Header=BB2_4 Depth=1
	v_add_co_u32 v2, vcc_lo, v20, s79
	v_add_co_ci_u32_e32 v3, vcc_lo, s76, v21, vcc_lo
	s_lshl_b64 s[2:3], s[22:23], 3
	v_mov_b32_e32 v10, v1
	s_add_u32 s83, s77, s2
	s_addc_u32 s84, s78, s3
	s_mov_b32 s85, 0
	s_branch .LBB2_40
.LBB2_39:                               ;   in Loop: Header=BB2_40 Depth=2
	v_add_nc_u32_e32 v10, s26, v10
	v_add_co_u32 v2, s2, v2, s36
	s_delay_alu instid0(VALU_DEP_1) | instskip(NEXT) | instid1(VALU_DEP_3)
	v_add_co_ci_u32_e64 v3, s2, s37, v3, s2
	v_cmp_le_i32_e32 vcc_lo, s52, v10
	s_waitcnt vmcnt(0)
	global_store_b64 v[4:5], v[6:7], off offset:-8
	s_or_b32 s85, vcc_lo, s85
	s_delay_alu instid0(SALU_CYCLE_1)
	s_and_not1_b32 exec_lo, exec_lo, s85
	s_cbranch_execz .LBB2_42
.LBB2_40:                               ;   Parent Loop BB2_4 Depth=1
                                        ; =>  This Loop Header: Depth=2
                                        ;       Child Loop BB2_41 Depth 3
	v_mad_i64_i32 v[4:5], null, v10, s12, 0
	v_dual_mov_b32 v9, v3 :: v_dual_mov_b32 v8, v2
	s_mov_b64 s[2:3], s[42:43]
	s_mov_b64 s[48:49], s[20:21]
	s_mov_b32 s86, s30
	s_delay_alu instid0(VALU_DEP_2) | instskip(NEXT) | instid1(VALU_DEP_1)
	v_lshlrev_b64 v[4:5], 3, v[4:5]
	v_add_co_u32 v4, vcc_lo, s83, v4
	s_delay_alu instid0(VALU_DEP_2)
	v_add_co_ci_u32_e32 v5, vcc_lo, s84, v5, vcc_lo
	s_and_not1_b32 vcc_lo, exec_lo, s54
	global_load_b64 v[6:7], v[4:5], off offset:-8
	s_cbranch_vccnz .LBB2_39
	.p2align	6
.LBB2_41:                               ;   Parent Loop BB2_4 Depth=1
                                        ;     Parent Loop BB2_40 Depth=2
                                        ; =>    This Inner Loop Header: Depth=3
	global_load_b64 v[11:12], v[8:9], off offset:-4
	s_clause 0x1
	global_load_b32 v37, v36, s[48:49]
	global_load_b32 v38, v36, s[2:3]
	s_add_i32 s86, s86, -1
	s_add_u32 s48, s48, 4
	s_addc_u32 s49, s49, 0
	s_add_u32 s2, s2, 4
	s_addc_u32 s3, s3, 0
	s_cmp_eq_u32 s86, 0
	s_waitcnt vmcnt(1)
	v_mul_f32_e32 v13, v37, v11
	s_waitcnt vmcnt(0)
	v_dual_mul_f32 v14, v37, v12 :: v_dual_mul_f32 v11, v38, v11
	v_mul_f32_e32 v12, v38, v12
	s_delay_alu instid0(VALU_DEP_3) | instskip(NEXT) | instid1(VALU_DEP_3)
	v_fmac_f32_e32 v13, v6, v38
	v_fmac_f32_e32 v14, v7, v38
	s_delay_alu instid0(VALU_DEP_4) | instskip(NEXT) | instid1(VALU_DEP_4)
	v_fma_f32 v6, v6, v37, -v11
	v_fma_f32 v7, v7, v37, -v12
	global_store_b64 v[8:9], v[13:14], off offset:-4
	v_add_co_u32 v8, vcc_lo, v8, 8
	v_add_co_ci_u32_e32 v9, vcc_lo, 0, v9, vcc_lo
	s_cbranch_scc0 .LBB2_41
	s_branch .LBB2_39
.LBB2_42:                               ;   in Loop: Header=BB2_4 Depth=1
	s_or_b32 exec_lo, exec_lo, s82
	s_mov_b32 s2, 0
.LBB2_43:                               ;   in Loop: Header=BB2_4 Depth=1
	s_delay_alu instid0(SALU_CYCLE_1)
	s_and_not1_b32 vcc_lo, exec_lo, s2
	s_cbranch_vccnz .LBB2_3
; %bb.44:                               ;   in Loop: Header=BB2_4 Depth=1
	s_and_not1_b32 vcc_lo, exec_lo, s58
	s_mov_b32 s2, -1
	s_cbranch_vccnz .LBB2_51
; %bb.45:                               ;   in Loop: Header=BB2_4 Depth=1
	s_and_saveexec_b32 s82, s0
	s_cbranch_execz .LBB2_50
; %bb.46:                               ;   in Loop: Header=BB2_4 Depth=1
	v_add_co_u32 v2, vcc_lo, v24, s79
	v_add_co_ci_u32_e32 v3, vcc_lo, s76, v25, vcc_lo
	s_lshl_b64 s[2:3], s[22:23], 3
	v_mov_b32_e32 v10, v1
	s_add_u32 s83, s77, s2
	s_addc_u32 s84, s78, s3
	s_mov_b32 s85, 0
	s_branch .LBB2_48
.LBB2_47:                               ;   in Loop: Header=BB2_48 Depth=2
	v_add_nc_u32_e32 v10, s26, v10
	v_add_co_u32 v2, s2, v2, s36
	s_delay_alu instid0(VALU_DEP_1) | instskip(NEXT) | instid1(VALU_DEP_3)
	v_add_co_ci_u32_e64 v3, s2, s37, v3, s2
	v_cmp_le_i32_e32 vcc_lo, s52, v10
	s_waitcnt vmcnt(0)
	global_store_b64 v[4:5], v[6:7], off offset:-8
	s_or_b32 s85, vcc_lo, s85
	s_delay_alu instid0(SALU_CYCLE_1)
	s_and_not1_b32 exec_lo, exec_lo, s85
	s_cbranch_execz .LBB2_50
.LBB2_48:                               ;   Parent Loop BB2_4 Depth=1
                                        ; =>  This Loop Header: Depth=2
                                        ;       Child Loop BB2_49 Depth 3
	v_mad_i64_i32 v[4:5], null, v10, s12, 0
	v_dual_mov_b32 v9, v3 :: v_dual_mov_b32 v8, v2
	s_mov_b64 s[2:3], s[46:47]
	s_mov_b64 s[48:49], s[44:45]
	s_mov_b32 s86, s30
	s_delay_alu instid0(VALU_DEP_2) | instskip(NEXT) | instid1(VALU_DEP_1)
	v_lshlrev_b64 v[4:5], 3, v[4:5]
	v_add_co_u32 v4, vcc_lo, s83, v4
	s_delay_alu instid0(VALU_DEP_2)
	v_add_co_ci_u32_e32 v5, vcc_lo, s84, v5, vcc_lo
	s_and_not1_b32 vcc_lo, exec_lo, s54
	global_load_b64 v[6:7], v[4:5], off offset:-8
	s_cbranch_vccnz .LBB2_47
	.p2align	6
.LBB2_49:                               ;   Parent Loop BB2_4 Depth=1
                                        ;     Parent Loop BB2_48 Depth=2
                                        ; =>    This Inner Loop Header: Depth=3
	global_load_b64 v[11:12], v[8:9], off offset:-4
	s_clause 0x1
	global_load_b32 v37, v36, s[48:49]
	global_load_b32 v38, v36, s[2:3]
	s_add_i32 s86, s86, -1
	s_add_u32 s48, s48, -4
	s_addc_u32 s49, s49, -1
	s_add_u32 s2, s2, -4
	s_addc_u32 s3, s3, -1
	s_cmp_eq_u32 s86, 0
	s_waitcnt vmcnt(1)
	v_mul_f32_e32 v13, v37, v11
	s_waitcnt vmcnt(0)
	v_dual_mul_f32 v14, v37, v12 :: v_dual_mul_f32 v11, v38, v11
	v_mul_f32_e32 v12, v38, v12
	s_delay_alu instid0(VALU_DEP_3) | instskip(NEXT) | instid1(VALU_DEP_3)
	v_fmac_f32_e32 v13, v6, v38
	v_fmac_f32_e32 v14, v7, v38
	s_delay_alu instid0(VALU_DEP_4) | instskip(NEXT) | instid1(VALU_DEP_4)
	v_fma_f32 v6, v6, v37, -v11
	v_fma_f32 v7, v7, v37, -v12
	global_store_b64 v[8:9], v[13:14], off offset:-4
	v_add_co_u32 v8, vcc_lo, v8, -8
	v_add_co_ci_u32_e32 v9, vcc_lo, -1, v9, vcc_lo
	s_cbranch_scc0 .LBB2_49
	s_branch .LBB2_47
.LBB2_50:                               ;   in Loop: Header=BB2_4 Depth=1
	s_or_b32 exec_lo, exec_lo, s82
	s_mov_b32 s2, 0
.LBB2_51:                               ;   in Loop: Header=BB2_4 Depth=1
	s_delay_alu instid0(SALU_CYCLE_1)
	s_and_not1_b32 vcc_lo, exec_lo, s2
	s_cbranch_vccnz .LBB2_3
; %bb.52:                               ;   in Loop: Header=BB2_4 Depth=1
	v_add_co_u32 v2, vcc_lo, v26, s79
	v_add_co_ci_u32_e32 v3, vcc_lo, s76, v27, vcc_lo
	s_and_not1_b32 vcc_lo, exec_lo, s59
	s_mov_b32 s2, -1
	s_cbranch_vccnz .LBB2_59
; %bb.53:                               ;   in Loop: Header=BB2_4 Depth=1
	s_and_saveexec_b32 s46, s1
	s_cbranch_execz .LBB2_58
; %bb.54:                               ;   in Loop: Header=BB2_4 Depth=1
	s_lshl_b64 s[2:3], s[28:29], 3
	v_dual_mov_b32 v5, v3 :: v_dual_mov_b32 v4, v2
	v_mov_b32_e32 v6, v1
	s_add_u32 s47, s77, s2
	s_addc_u32 s48, s78, s3
	s_mov_b32 s49, 0
	s_branch .LBB2_56
.LBB2_55:                               ;   in Loop: Header=BB2_56 Depth=2
	v_add_nc_u32_e32 v6, s26, v6
	v_add_co_u32 v7, vcc_lo, s47, v7
	v_add_co_ci_u32_e32 v8, vcc_lo, s48, v8, vcc_lo
	s_delay_alu instid0(VALU_DEP_3) | instskip(SKIP_1) | instid1(VALU_DEP_1)
	v_cmp_le_i32_e32 vcc_lo, s19, v6
	v_add_co_u32 v4, s2, v4, s38
	v_add_co_ci_u32_e64 v5, s2, s39, v5, s2
	s_or_b32 s49, vcc_lo, s49
	s_waitcnt vmcnt(0)
	global_store_b64 v[7:8], v[9:10], off
	s_and_not1_b32 exec_lo, exec_lo, s49
	s_cbranch_execz .LBB2_58
.LBB2_56:                               ;   Parent Loop BB2_4 Depth=1
                                        ; =>  This Loop Header: Depth=2
                                        ;       Child Loop BB2_57 Depth 3
	v_ashrrev_i32_e32 v7, 31, v6
	v_dual_mov_b32 v12, v5 :: v_dual_mov_b32 v11, v4
	s_mov_b64 s[2:3], s[42:43]
	s_mov_b64 s[44:45], s[20:21]
	s_delay_alu instid0(VALU_DEP_2) | instskip(SKIP_1) | instid1(VALU_DEP_1)
	v_lshlrev_b64 v[7:8], 3, v[6:7]
	s_mov_b32 s82, s60
	v_add_co_u32 v9, vcc_lo, s77, v7
	s_delay_alu instid0(VALU_DEP_2)
	v_add_co_ci_u32_e32 v10, vcc_lo, s78, v8, vcc_lo
	s_and_not1_b32 vcc_lo, exec_lo, s62
	global_load_b64 v[9:10], v[9:10], off
	s_cbranch_vccnz .LBB2_55
	.p2align	6
.LBB2_57:                               ;   Parent Loop BB2_4 Depth=1
                                        ;     Parent Loop BB2_56 Depth=2
                                        ; =>    This Inner Loop Header: Depth=3
	s_delay_alu instid0(VALU_DEP_2)
	v_add_co_u32 v13, vcc_lo, v11, s40
	v_add_co_ci_u32_e32 v14, vcc_lo, s41, v12, vcc_lo
	s_add_i32 s82, s82, -1
	global_load_b32 v41, v36, s[2:3]
	global_load_b64 v[37:38], v[13:14], off offset:-4
	global_load_b32 v42, v36, s[44:45]
	s_add_u32 s44, s44, 4
	s_addc_u32 s45, s45, 0
	s_add_u32 s2, s2, 4
	s_addc_u32 s3, s3, 0
	s_cmp_eq_u32 s82, 0
	s_waitcnt vmcnt(2)
	v_mul_f32_e32 v43, v9, v41
	s_waitcnt vmcnt(1)
	v_mul_f32_e32 v40, v41, v38
	v_mul_f32_e32 v39, v41, v37
	;; [unrolled: 1-line block ×3, first 2 shown]
	s_waitcnt vmcnt(0)
	s_delay_alu instid0(VALU_DEP_3) | instskip(NEXT) | instid1(VALU_DEP_3)
	v_fmac_f32_e32 v40, v10, v42
	v_fmac_f32_e32 v39, v9, v42
	s_delay_alu instid0(VALU_DEP_3)
	v_fma_f32 v10, v42, v38, -v41
	global_store_b64 v[11:12], v[39:40], off offset:-4
	v_dual_mov_b32 v11, v13 :: v_dual_mov_b32 v12, v14
	v_fma_f32 v9, v42, v37, -v43
	s_cbranch_scc0 .LBB2_57
	s_branch .LBB2_55
.LBB2_58:                               ;   in Loop: Header=BB2_4 Depth=1
	s_or_b32 exec_lo, exec_lo, s46
	s_mov_b32 s2, 0
.LBB2_59:                               ;   in Loop: Header=BB2_4 Depth=1
	s_delay_alu instid0(SALU_CYCLE_1)
	s_and_not1_b32 vcc_lo, exec_lo, s2
	s_cbranch_vccnz .LBB2_3
; %bb.60:                               ;   in Loop: Header=BB2_4 Depth=1
	v_add_co_u32 v4, vcc_lo, v30, s79
	s_add_u32 s44, s13, s80
	v_add_co_ci_u32_e32 v5, vcc_lo, s76, v31, vcc_lo
	s_addc_u32 s45, s27, s50
	s_add_u32 s46, s31, s81
	s_addc_u32 s47, s72, s51
	s_and_not1_b32 vcc_lo, exec_lo, s61
	s_mov_b32 s2, -1
	s_cbranch_vccnz .LBB2_68
; %bb.61:                               ;   in Loop: Header=BB2_4 Depth=1
	s_and_saveexec_b32 s80, s1
	s_cbranch_execz .LBB2_67
; %bb.62:                               ;   in Loop: Header=BB2_4 Depth=1
	v_add_co_u32 v13, vcc_lo, v28, s79
	v_add_co_ci_u32_e32 v14, vcc_lo, s76, v29, vcc_lo
	s_lshl_b64 s[2:3], s[28:29], 3
	v_dual_mov_b32 v7, v5 :: v_dual_mov_b32 v6, v4
	v_mov_b32_e32 v8, v1
	s_add_u32 s81, s77, s2
	s_addc_u32 s82, s78, s3
	s_mov_b32 s83, 0
	s_branch .LBB2_64
.LBB2_63:                               ;   in Loop: Header=BB2_64 Depth=2
	s_set_inst_prefetch_distance 0x2
	v_add_co_u32 v9, vcc_lo, s77, v9
	v_add_nc_u32_e32 v8, s26, v8
	v_add_co_ci_u32_e32 v10, vcc_lo, s78, v10, vcc_lo
	v_add_co_u32 v13, vcc_lo, v13, s38
	v_add_co_ci_u32_e32 v14, vcc_lo, s39, v14, vcc_lo
	s_delay_alu instid0(VALU_DEP_4) | instskip(SKIP_1) | instid1(VALU_DEP_1)
	v_cmp_le_i32_e32 vcc_lo, s19, v8
	v_add_co_u32 v6, s2, v6, s38
	v_add_co_ci_u32_e64 v7, s2, s39, v7, s2
	s_or_b32 s83, vcc_lo, s83
	s_waitcnt vmcnt(0)
	global_store_b64 v[9:10], v[11:12], off
	s_and_not1_b32 exec_lo, exec_lo, s83
	s_cbranch_execz .LBB2_67
.LBB2_64:                               ;   Parent Loop BB2_4 Depth=1
                                        ; =>  This Loop Header: Depth=2
                                        ;       Child Loop BB2_66 Depth 3
	v_ashrrev_i32_e32 v9, 31, v8
	s_delay_alu instid0(VALU_DEP_1) | instskip(NEXT) | instid1(VALU_DEP_1)
	v_lshlrev_b64 v[9:10], 3, v[8:9]
	v_add_co_u32 v11, vcc_lo, s81, v9
	s_delay_alu instid0(VALU_DEP_2)
	v_add_co_ci_u32_e32 v12, vcc_lo, s82, v10, vcc_lo
	s_and_not1_b32 vcc_lo, exec_lo, s62
	global_load_b64 v[11:12], v[11:12], off
	s_cbranch_vccnz .LBB2_63
; %bb.65:                               ;   in Loop: Header=BB2_64 Depth=2
	s_mov_b64 s[2:3], 0
	s_mov_b64 s[48:49], s[46:47]
	;; [unrolled: 1-line block ×3, first 2 shown]
	s_mov_b32 s84, s60
	s_set_inst_prefetch_distance 0x1
	.p2align	6
.LBB2_66:                               ;   Parent Loop BB2_4 Depth=1
                                        ;     Parent Loop BB2_64 Depth=2
                                        ; =>    This Inner Loop Header: Depth=3
	v_add_co_u32 v37, vcc_lo, v13, s2
	v_add_co_ci_u32_e32 v38, vcc_lo, s3, v14, vcc_lo
	s_waitcnt vmcnt(0)
	v_dual_mov_b32 v43, v12 :: v_dual_mov_b32 v44, v11
	s_clause 0x1
	global_load_b32 v41, v36, s[50:51]
	global_load_b32 v42, v36, s[48:49]
	global_load_b64 v[37:38], v[37:38], off
	v_add_co_u32 v39, vcc_lo, v6, s2
	s_add_i32 s84, s84, -1
	s_sub_u32 s2, s2, s40
	v_add_co_ci_u32_e32 v40, vcc_lo, s3, v7, vcc_lo
	s_subb_u32 s3, s3, s41
	s_add_u32 s50, s50, -4
	s_addc_u32 s51, s51, -1
	s_add_u32 s48, s48, -4
	s_addc_u32 s49, s49, -1
	s_cmp_eq_u32 s84, 0
	s_waitcnt vmcnt(0)
	v_dual_mul_f32 v45, v42, v37 :: v_dual_mul_f32 v12, v41, v38
	v_dual_mul_f32 v46, v42, v38 :: v_dual_mul_f32 v11, v41, v37
	s_delay_alu instid0(VALU_DEP_2) | instskip(NEXT) | instid1(VALU_DEP_3)
	v_fma_f32 v37, v44, v41, -v45
	v_fmac_f32_e32 v12, v43, v42
	s_delay_alu instid0(VALU_DEP_3) | instskip(NEXT) | instid1(VALU_DEP_4)
	v_fma_f32 v38, v43, v41, -v46
	v_fmac_f32_e32 v11, v44, v42
	global_store_b64 v[39:40], v[37:38], off offset:-4
	s_cbranch_scc0 .LBB2_66
	s_branch .LBB2_63
.LBB2_67:                               ;   in Loop: Header=BB2_4 Depth=1
	s_or_b32 exec_lo, exec_lo, s80
	s_mov_b32 s2, 0
.LBB2_68:                               ;   in Loop: Header=BB2_4 Depth=1
	s_delay_alu instid0(SALU_CYCLE_1)
	s_and_not1_b32 vcc_lo, exec_lo, s2
	s_cbranch_vccnz .LBB2_3
; %bb.69:                               ;   in Loop: Header=BB2_4 Depth=1
	s_and_not1_b32 vcc_lo, exec_lo, s63
	s_mov_b32 s2, -1
	s_cbranch_vccnz .LBB2_76
; %bb.70:                               ;   in Loop: Header=BB2_4 Depth=1
	s_and_saveexec_b32 s50, s1
	s_cbranch_execz .LBB2_75
; %bb.71:                               ;   in Loop: Header=BB2_4 Depth=1
	v_add_co_u32 v6, vcc_lo, v32, s79
	v_add_co_ci_u32_e32 v7, vcc_lo, s76, v33, vcc_lo
	v_mov_b32_e32 v8, v1
	s_mov_b32 s51, 0
	s_branch .LBB2_73
.LBB2_72:                               ;   in Loop: Header=BB2_73 Depth=2
	v_add_nc_u32_e32 v8, s26, v8
	v_add_co_u32 v6, s2, v6, s38
	s_delay_alu instid0(VALU_DEP_1) | instskip(NEXT) | instid1(VALU_DEP_3)
	v_add_co_ci_u32_e64 v7, s2, s39, v7, s2
	v_cmp_le_i32_e32 vcc_lo, s19, v8
	s_waitcnt vmcnt(0)
	global_store_b64 v[9:10], v[11:12], off
	s_or_b32 s51, vcc_lo, s51
	s_delay_alu instid0(SALU_CYCLE_1)
	s_and_not1_b32 exec_lo, exec_lo, s51
	s_cbranch_execz .LBB2_75
.LBB2_73:                               ;   Parent Loop BB2_4 Depth=1
                                        ; =>  This Loop Header: Depth=2
                                        ;       Child Loop BB2_74 Depth 3
	s_delay_alu instid0(VALU_DEP_1) | instskip(SKIP_3) | instid1(VALU_DEP_2)
	v_ashrrev_i32_e32 v9, 31, v8
	v_dual_mov_b32 v14, v7 :: v_dual_mov_b32 v13, v6
	s_mov_b32 s80, s60
	s_mov_b64 s[2:3], s[20:21]
	v_lshlrev_b64 v[9:10], 3, v[8:9]
	s_mov_b64 s[48:49], s[42:43]
	s_delay_alu instid0(VALU_DEP_1) | instskip(NEXT) | instid1(VALU_DEP_2)
	v_add_co_u32 v9, vcc_lo, s77, v9
	v_add_co_ci_u32_e32 v10, vcc_lo, s78, v10, vcc_lo
	s_and_not1_b32 vcc_lo, exec_lo, s62
	global_load_b64 v[11:12], v[9:10], off
	s_cbranch_vccnz .LBB2_72
	.p2align	6
.LBB2_74:                               ;   Parent Loop BB2_4 Depth=1
                                        ;     Parent Loop BB2_73 Depth=2
                                        ; =>    This Inner Loop Header: Depth=3
	s_clause 0x1
	global_load_b32 v39, v36, s[48:49]
	global_load_b32 v40, v36, s[2:3]
	global_load_b64 v[37:38], v[13:14], off offset:-4
	s_waitcnt vmcnt(3)
	v_dual_mov_b32 v41, v12 :: v_dual_mov_b32 v42, v11
	s_add_u32 s48, s48, 4
	s_addc_u32 s49, s49, 0
	s_add_u32 s2, s2, 4
	s_addc_u32 s3, s3, 0
	s_add_i32 s80, s80, -1
	s_delay_alu instid0(SALU_CYCLE_1)
	s_cmp_eq_u32 s80, 0
	s_waitcnt vmcnt(2)
	v_mul_f32_e32 v43, v42, v39
	s_waitcnt vmcnt(0)
	v_dual_mul_f32 v44, v41, v39 :: v_dual_mul_f32 v11, v39, v37
	v_mul_f32_e32 v12, v39, v38
	s_delay_alu instid0(VALU_DEP_3) | instskip(NEXT) | instid1(VALU_DEP_3)
	v_fma_f32 v37, v40, v37, -v43
	v_fma_f32 v38, v40, v38, -v44
	s_delay_alu instid0(VALU_DEP_4) | instskip(NEXT) | instid1(VALU_DEP_4)
	v_fmac_f32_e32 v11, v42, v40
	v_fmac_f32_e32 v12, v41, v40
	global_store_b64 v[13:14], v[37:38], off offset:-4
	v_add_co_u32 v13, vcc_lo, v13, s40
	v_add_co_ci_u32_e32 v14, vcc_lo, s41, v14, vcc_lo
	s_cbranch_scc0 .LBB2_74
	s_branch .LBB2_72
.LBB2_75:                               ;   in Loop: Header=BB2_4 Depth=1
	s_or_b32 exec_lo, exec_lo, s50
	s_mov_b32 s2, 0
.LBB2_76:                               ;   in Loop: Header=BB2_4 Depth=1
	s_delay_alu instid0(SALU_CYCLE_1)
	s_and_not1_b32 vcc_lo, exec_lo, s2
	s_cbranch_vccnz .LBB2_3
; %bb.77:                               ;   in Loop: Header=BB2_4 Depth=1
	s_and_not1_b32 vcc_lo, exec_lo, s64
	s_mov_b32 s2, -1
	s_cbranch_vccnz .LBB2_84
; %bb.78:                               ;   in Loop: Header=BB2_4 Depth=1
	s_and_saveexec_b32 s50, s1
	s_cbranch_execz .LBB2_83
; %bb.79:                               ;   in Loop: Header=BB2_4 Depth=1
	v_mov_b32_e32 v6, v1
	s_mov_b32 s51, 0
	s_branch .LBB2_81
.LBB2_80:                               ;   in Loop: Header=BB2_81 Depth=2
	v_add_nc_u32_e32 v6, s26, v6
	v_add_co_u32 v4, s2, v4, s38
	s_delay_alu instid0(VALU_DEP_1) | instskip(NEXT) | instid1(VALU_DEP_3)
	v_add_co_ci_u32_e64 v5, s2, s39, v5, s2
	v_cmp_le_i32_e32 vcc_lo, s19, v6
	s_waitcnt vmcnt(0)
	global_store_b64 v[7:8], v[9:10], off
	s_or_b32 s51, vcc_lo, s51
	s_delay_alu instid0(SALU_CYCLE_1)
	s_and_not1_b32 exec_lo, exec_lo, s51
	s_cbranch_execz .LBB2_83
.LBB2_81:                               ;   Parent Loop BB2_4 Depth=1
                                        ; =>  This Loop Header: Depth=2
                                        ;       Child Loop BB2_82 Depth 3
	s_delay_alu instid0(VALU_DEP_1) | instskip(SKIP_3) | instid1(VALU_DEP_2)
	v_ashrrev_i32_e32 v7, 31, v6
	v_dual_mov_b32 v12, v5 :: v_dual_mov_b32 v11, v4
	s_mov_b64 s[2:3], s[46:47]
	s_mov_b64 s[48:49], s[44:45]
	v_lshlrev_b64 v[7:8], 3, v[6:7]
	s_mov_b32 s80, s73
	s_delay_alu instid0(VALU_DEP_1) | instskip(NEXT) | instid1(VALU_DEP_2)
	v_add_co_u32 v7, vcc_lo, s77, v7
	v_add_co_ci_u32_e32 v8, vcc_lo, s78, v8, vcc_lo
	s_and_not1_b32 vcc_lo, exec_lo, s62
	global_load_b64 v[9:10], v[7:8], off
	s_cbranch_vccnz .LBB2_80
	.p2align	6
.LBB2_82:                               ;   Parent Loop BB2_4 Depth=1
                                        ;     Parent Loop BB2_81 Depth=2
                                        ; =>    This Inner Loop Header: Depth=3
	s_clause 0x1
	global_load_b32 v37, v36, s[2:3]
	global_load_b32 v38, v36, s[48:49]
	global_load_b64 v[13:14], v[11:12], off offset:-4
	s_waitcnt vmcnt(3)
	v_dual_mov_b32 v39, v10 :: v_dual_mov_b32 v40, v9
	s_add_i32 s80, s80, -1
	s_add_u32 s48, s48, -4
	s_addc_u32 s49, s49, -1
	s_add_u32 s2, s2, -4
	s_addc_u32 s3, s3, -1
	s_cmp_lt_u32 s80, 3
	s_waitcnt vmcnt(0)
	v_dual_mul_f32 v41, v40, v37 :: v_dual_mul_f32 v10, v37, v14
	v_mul_f32_e32 v9, v37, v13
	s_delay_alu instid0(VALU_DEP_2) | instskip(NEXT) | instid1(VALU_DEP_3)
	v_fma_f32 v13, v38, v13, -v41
	v_fmac_f32_e32 v10, v39, v38
	s_delay_alu instid0(VALU_DEP_3) | instskip(NEXT) | instid1(VALU_DEP_1)
	v_dual_mul_f32 v42, v39, v37 :: v_dual_fmac_f32 v9, v40, v38
	v_fma_f32 v14, v38, v14, -v42
	global_store_b64 v[11:12], v[13:14], off offset:-4
	v_add_co_u32 v11, vcc_lo, v11, s74
	v_add_co_ci_u32_e32 v12, vcc_lo, s75, v12, vcc_lo
	s_cbranch_scc0 .LBB2_82
	s_branch .LBB2_80
.LBB2_83:                               ;   in Loop: Header=BB2_4 Depth=1
	s_or_b32 exec_lo, exec_lo, s50
	s_mov_b32 s2, 0
.LBB2_84:                               ;   in Loop: Header=BB2_4 Depth=1
	s_delay_alu instid0(SALU_CYCLE_1)
	s_and_not1_b32 vcc_lo, exec_lo, s2
	s_cbranch_vccnz .LBB2_3
; %bb.85:                               ;   in Loop: Header=BB2_4 Depth=1
	s_and_not1_b32 vcc_lo, exec_lo, s65
	s_mov_b32 s2, -1
	s_cbranch_vccnz .LBB2_92
; %bb.86:                               ;   in Loop: Header=BB2_4 Depth=1
	s_and_saveexec_b32 s50, s1
	s_cbranch_execz .LBB2_91
; %bb.87:                               ;   in Loop: Header=BB2_4 Depth=1
	s_lshl_b64 s[2:3], s[28:29], 3
	v_mov_b32_e32 v4, v1
	s_add_u32 s51, s77, s2
	s_addc_u32 s80, s78, s3
	s_mov_b32 s81, 0
	s_branch .LBB2_89
.LBB2_88:                               ;   in Loop: Header=BB2_89 Depth=2
	v_add_nc_u32_e32 v4, s26, v4
	v_add_co_u32 v2, s2, v2, s38
	s_delay_alu instid0(VALU_DEP_1) | instskip(NEXT) | instid1(VALU_DEP_3)
	v_add_co_ci_u32_e64 v3, s2, s39, v3, s2
	v_cmp_le_i32_e32 vcc_lo, s19, v4
	s_waitcnt vmcnt(0)
	global_store_b64 v[5:6], v[7:8], off
	s_or_b32 s81, vcc_lo, s81
	s_delay_alu instid0(SALU_CYCLE_1)
	s_and_not1_b32 exec_lo, exec_lo, s81
	s_cbranch_execz .LBB2_91
.LBB2_89:                               ;   Parent Loop BB2_4 Depth=1
                                        ; =>  This Loop Header: Depth=2
                                        ;       Child Loop BB2_90 Depth 3
	v_ashrrev_i32_e32 v5, 31, v4
	v_dual_mov_b32 v10, v3 :: v_dual_mov_b32 v9, v2
	s_mov_b64 s[2:3], s[42:43]
	s_mov_b64 s[48:49], s[20:21]
	s_delay_alu instid0(VALU_DEP_2) | instskip(SKIP_1) | instid1(VALU_DEP_1)
	v_lshlrev_b64 v[5:6], 3, v[4:5]
	s_mov_b32 s82, s60
	v_add_co_u32 v5, vcc_lo, s51, v5
	s_delay_alu instid0(VALU_DEP_2)
	v_add_co_ci_u32_e32 v6, vcc_lo, s80, v6, vcc_lo
	s_and_not1_b32 vcc_lo, exec_lo, s62
	global_load_b64 v[7:8], v[5:6], off
	s_cbranch_vccnz .LBB2_88
	.p2align	6
.LBB2_90:                               ;   Parent Loop BB2_4 Depth=1
                                        ;     Parent Loop BB2_89 Depth=2
                                        ; =>    This Inner Loop Header: Depth=3
	global_load_b64 v[11:12], v[9:10], off offset:-4
	s_clause 0x1
	global_load_b32 v37, v36, s[48:49]
	global_load_b32 v38, v36, s[2:3]
	s_add_i32 s82, s82, -1
	s_add_u32 s48, s48, 4
	s_addc_u32 s49, s49, 0
	s_add_u32 s2, s2, 4
	s_addc_u32 s3, s3, 0
	s_cmp_eq_u32 s82, 0
	s_waitcnt vmcnt(1)
	v_mul_f32_e32 v13, v37, v11
	s_waitcnt vmcnt(0)
	v_dual_mul_f32 v14, v37, v12 :: v_dual_mul_f32 v11, v38, v11
	s_delay_alu instid0(VALU_DEP_2) | instskip(NEXT) | instid1(VALU_DEP_2)
	v_dual_mul_f32 v12, v38, v12 :: v_dual_fmac_f32 v13, v7, v38
	v_fmac_f32_e32 v14, v8, v38
	s_delay_alu instid0(VALU_DEP_3) | instskip(NEXT) | instid1(VALU_DEP_3)
	v_fma_f32 v7, v7, v37, -v11
	v_fma_f32 v8, v8, v37, -v12
	global_store_b64 v[9:10], v[13:14], off offset:-4
	v_add_co_u32 v9, vcc_lo, v9, s40
	v_add_co_ci_u32_e32 v10, vcc_lo, s41, v10, vcc_lo
	s_cbranch_scc0 .LBB2_90
	s_branch .LBB2_88
.LBB2_91:                               ;   in Loop: Header=BB2_4 Depth=1
	s_or_b32 exec_lo, exec_lo, s50
	s_mov_b32 s2, 0
.LBB2_92:                               ;   in Loop: Header=BB2_4 Depth=1
	s_delay_alu instid0(SALU_CYCLE_1)
	s_and_not1_b32 vcc_lo, exec_lo, s2
	s_cbranch_vccnz .LBB2_3
; %bb.93:                               ;   in Loop: Header=BB2_4 Depth=1
	s_and_saveexec_b32 s42, s66
	s_cbranch_execz .LBB2_2
; %bb.94:                               ;   in Loop: Header=BB2_4 Depth=1
	v_add_co_u32 v2, vcc_lo, v34, s79
	v_add_co_ci_u32_e32 v3, vcc_lo, s76, v35, vcc_lo
	s_lshl_b64 s[2:3], s[28:29], 3
	v_mov_b32_e32 v4, v1
	s_add_u32 s43, s77, s2
	s_addc_u32 s48, s78, s3
	s_mov_b32 s49, 0
	s_branch .LBB2_96
.LBB2_95:                               ;   in Loop: Header=BB2_96 Depth=2
	v_add_nc_u32_e32 v4, s26, v4
	v_add_co_u32 v2, s2, v2, s38
	s_delay_alu instid0(VALU_DEP_1) | instskip(NEXT) | instid1(VALU_DEP_3)
	v_add_co_ci_u32_e64 v3, s2, s39, v3, s2
	v_cmp_le_i32_e32 vcc_lo, s19, v4
	s_waitcnt vmcnt(0)
	global_store_b64 v[5:6], v[7:8], off
	s_or_b32 s49, vcc_lo, s49
	s_delay_alu instid0(SALU_CYCLE_1)
	s_and_not1_b32 exec_lo, exec_lo, s49
	s_cbranch_execz .LBB2_2
.LBB2_96:                               ;   Parent Loop BB2_4 Depth=1
                                        ; =>  This Loop Header: Depth=2
                                        ;       Child Loop BB2_97 Depth 3
	v_ashrrev_i32_e32 v5, 31, v4
	v_dual_mov_b32 v10, v3 :: v_dual_mov_b32 v9, v2
	s_mov_b64 s[2:3], s[46:47]
	s_mov_b64 s[20:21], s[44:45]
	s_delay_alu instid0(VALU_DEP_2) | instskip(SKIP_1) | instid1(VALU_DEP_1)
	v_lshlrev_b64 v[5:6], 3, v[4:5]
	s_mov_b32 s50, s60
	v_add_co_u32 v5, vcc_lo, s43, v5
	s_delay_alu instid0(VALU_DEP_2)
	v_add_co_ci_u32_e32 v6, vcc_lo, s48, v6, vcc_lo
	s_and_not1_b32 vcc_lo, exec_lo, s62
	global_load_b64 v[7:8], v[5:6], off
	s_cbranch_vccnz .LBB2_95
	.p2align	6
.LBB2_97:                               ;   Parent Loop BB2_4 Depth=1
                                        ;     Parent Loop BB2_96 Depth=2
                                        ; =>    This Inner Loop Header: Depth=3
	global_load_b64 v[11:12], v[9:10], off offset:-4
	s_clause 0x1
	global_load_b32 v37, v36, s[20:21]
	global_load_b32 v38, v36, s[2:3]
	s_add_i32 s50, s50, -1
	s_add_u32 s20, s20, -4
	s_addc_u32 s21, s21, -1
	s_add_u32 s2, s2, -4
	s_addc_u32 s3, s3, -1
	s_cmp_eq_u32 s50, 0
	s_waitcnt vmcnt(1)
	v_mul_f32_e32 v13, v37, v11
	s_waitcnt vmcnt(0)
	v_dual_mul_f32 v14, v37, v12 :: v_dual_mul_f32 v11, v38, v11
	s_delay_alu instid0(VALU_DEP_2) | instskip(NEXT) | instid1(VALU_DEP_2)
	v_dual_mul_f32 v12, v38, v12 :: v_dual_fmac_f32 v13, v7, v38
	v_fmac_f32_e32 v14, v8, v38
	s_delay_alu instid0(VALU_DEP_3) | instskip(NEXT) | instid1(VALU_DEP_3)
	v_fma_f32 v7, v7, v37, -v11
	v_fma_f32 v8, v8, v37, -v12
	global_store_b64 v[9:10], v[13:14], off offset:-4
	v_add_co_u32 v9, vcc_lo, v9, s74
	v_add_co_ci_u32_e32 v10, vcc_lo, s75, v10, vcc_lo
	s_cbranch_scc0 .LBB2_97
	s_branch .LBB2_95
.LBB2_98:
	s_nop 0
	s_sendmsg sendmsg(MSG_DEALLOC_VGPRS)
	s_endpgm
	.section	.rodata,"a",@progbits
	.p2align	6, 0x0
	.amdhsa_kernel _ZN9rocsolver6v33100L11lasr_kernelI19rocblas_complex_numIfEfPS3_iEEv13rocblas_side_14rocblas_pivot_15rocblas_direct_T2_S8_PT0_lSA_lT1_lS8_lS8_
		.amdhsa_group_segment_fixed_size 0
		.amdhsa_private_segment_fixed_size 0
		.amdhsa_kernarg_size 352
		.amdhsa_user_sgpr_count 14
		.amdhsa_user_sgpr_dispatch_ptr 0
		.amdhsa_user_sgpr_queue_ptr 0
		.amdhsa_user_sgpr_kernarg_segment_ptr 1
		.amdhsa_user_sgpr_dispatch_id 0
		.amdhsa_user_sgpr_private_segment_size 0
		.amdhsa_wavefront_size32 1
		.amdhsa_uses_dynamic_stack 0
		.amdhsa_enable_private_segment 0
		.amdhsa_system_sgpr_workgroup_id_x 1
		.amdhsa_system_sgpr_workgroup_id_y 0
		.amdhsa_system_sgpr_workgroup_id_z 1
		.amdhsa_system_sgpr_workgroup_info 0
		.amdhsa_system_vgpr_workitem_id 0
		.amdhsa_next_free_vgpr 47
		.amdhsa_next_free_sgpr 87
		.amdhsa_reserve_vcc 1
		.amdhsa_float_round_mode_32 0
		.amdhsa_float_round_mode_16_64 0
		.amdhsa_float_denorm_mode_32 3
		.amdhsa_float_denorm_mode_16_64 3
		.amdhsa_dx10_clamp 1
		.amdhsa_ieee_mode 1
		.amdhsa_fp16_overflow 0
		.amdhsa_workgroup_processor_mode 1
		.amdhsa_memory_ordered 1
		.amdhsa_forward_progress 0
		.amdhsa_shared_vgpr_count 0
		.amdhsa_exception_fp_ieee_invalid_op 0
		.amdhsa_exception_fp_denorm_src 0
		.amdhsa_exception_fp_ieee_div_zero 0
		.amdhsa_exception_fp_ieee_overflow 0
		.amdhsa_exception_fp_ieee_underflow 0
		.amdhsa_exception_fp_ieee_inexact 0
		.amdhsa_exception_int_div_zero 0
	.end_amdhsa_kernel
	.section	.text._ZN9rocsolver6v33100L11lasr_kernelI19rocblas_complex_numIfEfPS3_iEEv13rocblas_side_14rocblas_pivot_15rocblas_direct_T2_S8_PT0_lSA_lT1_lS8_lS8_,"axG",@progbits,_ZN9rocsolver6v33100L11lasr_kernelI19rocblas_complex_numIfEfPS3_iEEv13rocblas_side_14rocblas_pivot_15rocblas_direct_T2_S8_PT0_lSA_lT1_lS8_lS8_,comdat
.Lfunc_end2:
	.size	_ZN9rocsolver6v33100L11lasr_kernelI19rocblas_complex_numIfEfPS3_iEEv13rocblas_side_14rocblas_pivot_15rocblas_direct_T2_S8_PT0_lSA_lT1_lS8_lS8_, .Lfunc_end2-_ZN9rocsolver6v33100L11lasr_kernelI19rocblas_complex_numIfEfPS3_iEEv13rocblas_side_14rocblas_pivot_15rocblas_direct_T2_S8_PT0_lSA_lT1_lS8_lS8_
                                        ; -- End function
	.section	.AMDGPU.csdata,"",@progbits
; Kernel info:
; codeLenInByte = 5072
; NumSgprs: 89
; NumVgprs: 47
; ScratchSize: 0
; MemoryBound: 0
; FloatMode: 240
; IeeeMode: 1
; LDSByteSize: 0 bytes/workgroup (compile time only)
; SGPRBlocks: 11
; VGPRBlocks: 5
; NumSGPRsForWavesPerEU: 89
; NumVGPRsForWavesPerEU: 47
; Occupancy: 16
; WaveLimiterHint : 0
; COMPUTE_PGM_RSRC2:SCRATCH_EN: 0
; COMPUTE_PGM_RSRC2:USER_SGPR: 14
; COMPUTE_PGM_RSRC2:TRAP_HANDLER: 0
; COMPUTE_PGM_RSRC2:TGID_X_EN: 1
; COMPUTE_PGM_RSRC2:TGID_Y_EN: 0
; COMPUTE_PGM_RSRC2:TGID_Z_EN: 1
; COMPUTE_PGM_RSRC2:TIDIG_COMP_CNT: 0
	.section	.text._ZN9rocsolver6v33100L11lasr_kernelI19rocblas_complex_numIdEdPS3_iEEv13rocblas_side_14rocblas_pivot_15rocblas_direct_T2_S8_PT0_lSA_lT1_lS8_lS8_,"axG",@progbits,_ZN9rocsolver6v33100L11lasr_kernelI19rocblas_complex_numIdEdPS3_iEEv13rocblas_side_14rocblas_pivot_15rocblas_direct_T2_S8_PT0_lSA_lT1_lS8_lS8_,comdat
	.globl	_ZN9rocsolver6v33100L11lasr_kernelI19rocblas_complex_numIdEdPS3_iEEv13rocblas_side_14rocblas_pivot_15rocblas_direct_T2_S8_PT0_lSA_lT1_lS8_lS8_ ; -- Begin function _ZN9rocsolver6v33100L11lasr_kernelI19rocblas_complex_numIdEdPS3_iEEv13rocblas_side_14rocblas_pivot_15rocblas_direct_T2_S8_PT0_lSA_lT1_lS8_lS8_
	.p2align	8
	.type	_ZN9rocsolver6v33100L11lasr_kernelI19rocblas_complex_numIdEdPS3_iEEv13rocblas_side_14rocblas_pivot_15rocblas_direct_T2_S8_PT0_lSA_lT1_lS8_lS8_,@function
_ZN9rocsolver6v33100L11lasr_kernelI19rocblas_complex_numIdEdPS3_iEEv13rocblas_side_14rocblas_pivot_15rocblas_direct_T2_S8_PT0_lSA_lT1_lS8_lS8_: ; @_ZN9rocsolver6v33100L11lasr_kernelI19rocblas_complex_numIdEdPS3_iEEv13rocblas_side_14rocblas_pivot_15rocblas_direct_T2_S8_PT0_lSA_lT1_lS8_lS8_
; %bb.0:
	s_load_b32 s33, s[0:1], 0x58
	s_waitcnt lgkmcnt(0)
	s_cmp_ge_u32 s15, s33
	s_cbranch_scc1 .LBB3_98
; %bb.1:
	s_clause 0x5
	s_load_b32 s12, s[0:1], 0x48
	s_load_b128 s[20:23], s[0:1], 0x38
	s_load_b64 s[24:25], s[0:1], 0x68
	s_load_b128 s[16:19], s[0:1], 0x0
	s_load_b32 s52, s[0:1], 0x10
	s_load_b32 s28, s[0:1], 0x60
	s_mov_b32 s43, 0
	v_mov_b32_e32 v38, 0
	s_mov_b32 s45, s43
	s_waitcnt lgkmcnt(0)
	s_ashr_i32 s13, s12, 31
	s_lshl_b64 s[2:3], s[22:23], 4
	s_and_b32 s26, s25, 0xffff
	s_add_u32 s25, s20, s2
	s_addc_u32 s53, s21, s3
	s_cmpk_lg_i32 s16, 0x8d
	v_mad_u64_u32 v[4:5], null, s14, s26, v[0:1]
	s_cselect_b32 s27, -1, 0
	s_cmpk_lg_i32 s16, 0x8e
	s_mov_b32 s22, s19
	s_cselect_b32 s30, -1, 0
	s_cmpk_lg_i32 s17, 0x119
	s_cselect_b32 s29, -1, 0
	s_cmpk_lg_i32 s17, 0x11b
	v_mad_i64_i32 v[0:1], null, s12, v4, 0
	s_cselect_b32 s31, -1, 0
	s_cmpk_lg_i32 s17, 0x11a
	s_load_b64 s[16:17], s[0:1], 0x50
	s_cselect_b32 s34, -1, 0
	s_cmpk_lg_i32 s18, 0xab
	s_mul_i32 s26, s28, s26
	s_cselect_b32 s35, -1, 0
	s_or_b32 s36, s27, s29
	s_ashr_i32 s23, s19, 31
	s_or_b32 s4, s36, s35
	s_add_i32 s42, s19, -2
	s_xor_b32 s14, s4, -1
	s_cmpk_lg_i32 s18, 0xac
	s_load_b256 s[4:11], s[0:1], 0x18
	s_cselect_b32 s37, -1, 0
	v_cmp_le_i32_e32 vcc_lo, s19, v4
	s_or_b32 s0, s36, s37
	v_lshlrev_b64 v[0:1], 4, v[0:1]
	s_xor_b32 s18, s0, -1
	s_cmp_gt_i32 s19, 1
	v_ashrrev_i32_e32 v5, 31, v4
	s_cselect_b32 s54, -1, 0
	s_or_b32 s1, s27, s34
	s_or_b32 s27, s27, s31
	;; [unrolled: 1-line block ×9, first 2 shown]
	s_xor_b32 s55, s29, -1
	s_xor_b32 s56, s1, -1
	;; [unrolled: 1-line block ×5, first 2 shown]
	s_add_i32 s60, s52, -1
	s_xor_b32 s61, s28, -1
	s_add_i32 s44, s52, -2
	s_cmp_gt_i32 s52, 1
	s_mul_i32 s36, s12, s26
	s_cselect_b32 s62, -1, 0
	s_or_b32 s27, s30, s34
	s_or_b32 s30, s30, s31
	;; [unrolled: 1-line block ×4, first 2 shown]
	s_or_b32 s31, s37, vcc_lo
	s_xor_b32 s64, s27, -1
	s_or_b32 s27, s30, s35
	v_add_co_u32 v0, vcc_lo, s25, v0
	s_xor_b32 s65, s27, -1
	s_or_b32 s27, s30, s31
	s_mul_hi_i32 s37, s12, s26
	s_lshl_b64 s[38:39], s[42:43], 3
	s_xor_b32 s63, s34, -1
	s_xor_b32 s66, s27, -1
	s_add_i32 s30, s19, -1
	s_waitcnt lgkmcnt(0)
	s_lshl_b64 s[10:11], s[10:11], 3
	s_lshl_b64 s[6:7], s[6:7], 3
	v_add_co_ci_u32_e32 v1, vcc_lo, s53, v1, vcc_lo
	s_lshl_b64 s[34:35], s[16:17], 4
	s_ashr_i32 s27, s26, 31
	s_lshl_b64 s[36:37], s[36:37], 4
	s_add_u32 s67, s4, s38
	s_addc_u32 s68, s5, s39
	v_add_co_u32 v16, vcc_lo, v0, 24
	s_add_u32 s69, s8, s38
	s_addc_u32 s70, s9, s39
	s_lshl_b64 s[38:39], s[42:43], 4
	v_add_co_ci_u32_e32 v17, vcc_lo, 0, v1, vcc_lo
	v_add_co_u32 v18, vcc_lo, v0, s38
	v_add_co_ci_u32_e32 v19, vcc_lo, s39, v1, vcc_lo
	v_add_co_u32 v20, vcc_lo, v0, 16
	;; [unrolled: 2-line block ×3, first 2 shown]
	s_mov_b32 s31, s43
	v_add_co_ci_u32_e32 v23, vcc_lo, 0, v1, vcc_lo
	s_lshl_b64 s[38:39], s[30:31], 4
	v_lshlrev_b64 v[0:1], 4, v[4:5]
	v_add_co_u32 v24, vcc_lo, v22, s38
	s_mul_i32 s31, s13, s44
	s_mul_hi_u32 s38, s12, s44
	v_add_co_ci_u32_e32 v25, vcc_lo, s39, v23, vcc_lo
	s_add_i32 s41, s38, s31
	s_mul_i32 s40, s12, s44
	v_add_co_u32 v26, vcc_lo, v18, 8
	s_lshl_b64 s[46:47], s[40:41], 4
	s_add_i32 s71, s19, 1
	v_add_co_ci_u32_e32 v27, vcc_lo, 0, v19, vcc_lo
	s_lshl_b64 s[38:39], s[26:27], 4
	s_lshl_b64 s[40:41], s[12:13], 4
	v_add_co_u32 v2, vcc_lo, s25, v0
	s_add_u32 s27, s46, s2
	s_mul_i32 s28, s12, s60
	s_addc_u32 s31, s47, s3
	s_mul_i32 s13, s13, s60
	s_mul_hi_u32 s42, s12, s60
	v_add_co_ci_u32_e32 v3, vcc_lo, s53, v1, vcc_lo
	s_add_u32 s27, s20, s27
	s_addc_u32 s31, s21, s31
	s_add_i32 s47, s42, s13
	s_mov_b32 s46, s28
	v_add_co_u32 v28, vcc_lo, v2, 8
	s_lshl_b64 s[42:43], s[46:47], 4
	v_add_co_ci_u32_e32 v29, vcc_lo, 0, v3, vcc_lo
	s_add_u32 s13, s42, s2
	v_add_co_u32 v30, vcc_lo, s27, v0
	s_addc_u32 s27, s43, s3
	s_add_u32 s13, s20, s13
	v_add_co_ci_u32_e32 v31, vcc_lo, s31, v1, vcc_lo
	s_addc_u32 s27, s21, s27
	s_lshl_b64 s[42:43], s[44:45], 3
	v_add_co_u32 v2, vcc_lo, s13, v0
	s_add_u32 s13, s4, s42
	v_add_co_ci_u32_e32 v3, vcc_lo, s27, v1, vcc_lo
	s_addc_u32 s27, s5, s43
	s_add_u32 s31, s8, s42
	s_addc_u32 s72, s9, s43
	s_add_u32 s2, s2, s40
	;; [unrolled: 2-line block ×3, first 2 shown]
	s_addc_u32 s3, s21, s3
	v_add_co_u32 v0, vcc_lo, s2, v0
	v_add_co_ci_u32_e32 v1, vcc_lo, s3, v1, vcc_lo
	v_add_co_u32 v32, vcc_lo, v2, 8
	v_add_co_ci_u32_e32 v33, vcc_lo, 0, v3, vcc_lo
	s_delay_alu instid0(VALU_DEP_4) | instskip(NEXT) | instid1(VALU_DEP_4)
	v_add_co_u32 v34, vcc_lo, v0, 8
	v_add_co_ci_u32_e32 v35, vcc_lo, 0, v1, vcc_lo
	v_add_co_u32 v36, vcc_lo, v30, 8
	v_cmp_gt_i32_e64 s0, s52, v4
	v_cmp_gt_i32_e64 s1, s19, v4
	v_add_co_ci_u32_e32 v37, vcc_lo, 0, v31, vcc_lo
	s_add_i32 s73, s52, 1
	s_sub_u32 s74, 0, s40
	s_mul_hi_i32 s29, s12, s60
	s_subb_u32 s75, 0, s41
	s_branch .LBB3_4
.LBB3_2:                                ;   in Loop: Header=BB3_4 Depth=1
	s_or_b32 exec_lo, exec_lo, s42
.LBB3_3:                                ;   in Loop: Header=BB3_4 Depth=1
	s_add_i32 s15, s15, s24
	s_delay_alu instid0(SALU_CYCLE_1)
	s_cmp_ge_u32 s15, s33
	s_cbranch_scc1 .LBB3_98
.LBB3_4:                                ; =>This Loop Header: Depth=1
                                        ;     Child Loop BB3_8 Depth 2
                                        ;       Child Loop BB3_9 Depth 3
                                        ;     Child Loop BB3_16 Depth 2
                                        ;       Child Loop BB3_17 Depth 3
	;; [unrolled: 2-line block ×12, first 2 shown]
	s_mul_i32 s2, s7, s15
	s_mul_hi_u32 s3, s6, s15
	s_mul_hi_u32 s76, s34, s15
	s_add_i32 s50, s3, s2
	s_mul_i32 s2, s11, s15
	s_mul_hi_u32 s3, s10, s15
	s_mul_i32 s80, s6, s15
	s_add_i32 s51, s3, s2
	s_mul_i32 s2, s35, s15
	s_mul_i32 s81, s10, s15
	s_add_i32 s76, s76, s2
	s_add_u32 s20, s4, s80
	s_addc_u32 s21, s5, s50
	s_mul_i32 s2, s15, s17
	s_mul_hi_u32 s3, s15, s16
	s_add_u32 s42, s8, s81
	s_addc_u32 s43, s9, s51
	s_add_i32 s3, s3, s2
	s_mul_i32 s2, s15, s16
	s_mul_i32 s79, s34, s15
	s_lshl_b64 s[2:3], s[2:3], 4
	s_delay_alu instid0(SALU_CYCLE_1)
	s_add_u32 s77, s25, s2
	s_addc_u32 s78, s53, s3
	s_and_not1_b32 vcc_lo, exec_lo, s14
	s_mov_b32 s2, -1
	s_cbranch_vccnz .LBB3_11
; %bb.5:                                ;   in Loop: Header=BB3_4 Depth=1
	s_and_saveexec_b32 s46, s0
	s_cbranch_execz .LBB3_10
; %bb.6:                                ;   in Loop: Header=BB3_4 Depth=1
	v_add_co_u32 v5, vcc_lo, v16, s79
	v_add_co_ci_u32_e32 v6, vcc_lo, s76, v17, vcc_lo
	s_lshl_b64 s[2:3], s[22:23], 4
	v_mov_b32_e32 v11, v4
	s_add_u32 s47, s77, s2
	s_addc_u32 s48, s78, s3
	s_mov_b32 s49, 0
	s_branch .LBB3_8
.LBB3_7:                                ;   in Loop: Header=BB3_8 Depth=2
	v_add_nc_u32_e32 v11, s26, v11
	v_add_co_u32 v7, vcc_lo, s47, v7
	v_add_co_ci_u32_e32 v8, vcc_lo, s48, v8, vcc_lo
	s_delay_alu instid0(VALU_DEP_3) | instskip(SKIP_1) | instid1(VALU_DEP_1)
	v_cmp_le_i32_e32 vcc_lo, s52, v11
	v_add_co_u32 v5, s2, v5, s36
	v_add_co_ci_u32_e64 v6, s2, s37, v6, s2
	s_or_b32 s49, vcc_lo, s49
	s_waitcnt vmcnt(0)
	global_store_b128 v[7:8], v[0:3], off offset:-16
	s_and_not1_b32 exec_lo, exec_lo, s49
	s_cbranch_execz .LBB3_10
.LBB3_8:                                ;   Parent Loop BB3_4 Depth=1
                                        ; =>  This Loop Header: Depth=2
                                        ;       Child Loop BB3_9 Depth 3
	v_mad_i64_i32 v[0:1], null, v11, s12, 0
	v_dual_mov_b32 v10, v6 :: v_dual_mov_b32 v9, v5
	s_mov_b64 s[2:3], s[20:21]
	s_mov_b64 s[44:45], s[42:43]
	s_mov_b32 s82, s30
	s_delay_alu instid0(VALU_DEP_2) | instskip(NEXT) | instid1(VALU_DEP_1)
	v_lshlrev_b64 v[7:8], 4, v[0:1]
	v_add_co_u32 v0, vcc_lo, s77, v7
	s_delay_alu instid0(VALU_DEP_2)
	v_add_co_ci_u32_e32 v1, vcc_lo, s78, v8, vcc_lo
	s_and_not1_b32 vcc_lo, exec_lo, s54
	global_load_b128 v[0:3], v[0:1], off
	s_cbranch_vccnz .LBB3_7
	.p2align	6
.LBB3_9:                                ;   Parent Loop BB3_4 Depth=1
                                        ;     Parent Loop BB3_8 Depth=2
                                        ; =>    This Inner Loop Header: Depth=3
	global_load_b64 v[39:40], v38, s[44:45]
	global_load_b128 v[12:15], v[9:10], off offset:-8
	global_load_b64 v[43:44], v38, s[2:3]
	s_add_i32 s82, s82, -1
	s_add_u32 s44, s44, 8
	s_addc_u32 s45, s45, 0
	s_add_u32 s2, s2, 8
	s_addc_u32 s3, s3, 0
	s_cmp_eq_u32 s82, 0
	s_waitcnt vmcnt(2)
	v_mul_f64 v[47:48], v[0:1], v[39:40]
	s_waitcnt vmcnt(1)
	v_mul_f64 v[41:42], v[39:40], v[12:13]
	v_mul_f64 v[45:46], v[39:40], v[14:15]
	;; [unrolled: 1-line block ×3, first 2 shown]
	s_waitcnt vmcnt(0)
	s_delay_alu instid0(VALU_DEP_3) | instskip(NEXT) | instid1(VALU_DEP_3)
	v_fma_f64 v[39:40], v[0:1], v[43:44], v[41:42]
	v_fma_f64 v[41:42], v[2:3], v[43:44], v[45:46]
	v_fma_f64 v[0:1], v[43:44], v[12:13], -v[47:48]
	s_delay_alu instid0(VALU_DEP_4)
	v_fma_f64 v[2:3], v[43:44], v[14:15], -v[49:50]
	global_store_b128 v[9:10], v[39:42], off offset:-24
	v_add_co_u32 v9, vcc_lo, v9, 16
	v_add_co_ci_u32_e32 v10, vcc_lo, 0, v10, vcc_lo
	s_cbranch_scc0 .LBB3_9
	s_branch .LBB3_7
.LBB3_10:                               ;   in Loop: Header=BB3_4 Depth=1
	s_or_b32 exec_lo, exec_lo, s46
	s_mov_b32 s2, 0
.LBB3_11:                               ;   in Loop: Header=BB3_4 Depth=1
	s_delay_alu instid0(SALU_CYCLE_1)
	s_and_not1_b32 vcc_lo, exec_lo, s2
	s_cbranch_vccnz .LBB3_3
; %bb.12:                               ;   in Loop: Header=BB3_4 Depth=1
	s_add_u32 s44, s67, s80
	s_addc_u32 s45, s68, s50
	s_add_u32 s46, s69, s81
	s_addc_u32 s47, s70, s51
	s_and_not1_b32 vcc_lo, exec_lo, s18
	s_mov_b32 s2, -1
	s_cbranch_vccnz .LBB3_19
; %bb.13:                               ;   in Loop: Header=BB3_4 Depth=1
	s_and_saveexec_b32 s82, s0
	s_cbranch_execz .LBB3_18
; %bb.14:                               ;   in Loop: Header=BB3_4 Depth=1
	v_add_co_u32 v5, vcc_lo, v18, s79
	v_add_co_ci_u32_e32 v6, vcc_lo, s76, v19, vcc_lo
	s_lshl_b64 s[2:3], s[22:23], 4
	v_mov_b32_e32 v11, v4
	s_add_u32 s83, s77, s2
	s_addc_u32 s84, s78, s3
	s_mov_b32 s85, 0
	s_branch .LBB3_16
.LBB3_15:                               ;   in Loop: Header=BB3_16 Depth=2
	v_add_nc_u32_e32 v11, s26, v11
	v_add_co_u32 v7, vcc_lo, s77, v7
	v_add_co_ci_u32_e32 v8, vcc_lo, s78, v8, vcc_lo
	s_delay_alu instid0(VALU_DEP_3) | instskip(SKIP_1) | instid1(VALU_DEP_1)
	v_cmp_le_i32_e32 vcc_lo, s52, v11
	v_add_co_u32 v5, s2, v5, s36
	v_add_co_ci_u32_e64 v6, s2, s37, v6, s2
	s_or_b32 s85, vcc_lo, s85
	s_waitcnt vmcnt(0)
	global_store_b128 v[7:8], v[0:3], off
	s_and_not1_b32 exec_lo, exec_lo, s85
	s_cbranch_execz .LBB3_18
.LBB3_16:                               ;   Parent Loop BB3_4 Depth=1
                                        ; =>  This Loop Header: Depth=2
                                        ;       Child Loop BB3_17 Depth 3
	v_mad_i64_i32 v[0:1], null, v11, s12, 0
	v_dual_mov_b32 v10, v6 :: v_dual_mov_b32 v9, v5
	s_mov_b64 s[2:3], s[46:47]
	s_mov_b64 s[48:49], s[44:45]
	s_mov_b32 s86, s30
	s_delay_alu instid0(VALU_DEP_2) | instskip(NEXT) | instid1(VALU_DEP_1)
	v_lshlrev_b64 v[7:8], 4, v[0:1]
	v_add_co_u32 v0, vcc_lo, s83, v7
	s_delay_alu instid0(VALU_DEP_2)
	v_add_co_ci_u32_e32 v1, vcc_lo, s84, v8, vcc_lo
	s_and_not1_b32 vcc_lo, exec_lo, s54
	global_load_b128 v[0:3], v[0:1], off offset:-16
	s_cbranch_vccnz .LBB3_15
	.p2align	6
.LBB3_17:                               ;   Parent Loop BB3_4 Depth=1
                                        ;     Parent Loop BB3_16 Depth=2
                                        ; =>    This Inner Loop Header: Depth=3
	global_load_b64 v[39:40], v38, s[2:3]
	global_load_b128 v[12:15], v[9:10], off
	global_load_b64 v[41:42], v38, s[48:49]
	s_add_i32 s86, s86, -1
	s_add_u32 s48, s48, -8
	s_addc_u32 s49, s49, -1
	s_add_u32 s2, s2, -8
	s_addc_u32 s3, s3, -1
	s_cmp_eq_u32 s86, 0
	s_waitcnt vmcnt(1)
	v_mul_f64 v[43:44], v[39:40], v[12:13]
	v_mul_f64 v[45:46], v[39:40], v[14:15]
	s_waitcnt vmcnt(0)
	v_mul_f64 v[47:48], v[41:42], v[12:13]
	v_mul_f64 v[49:50], v[41:42], v[14:15]
	s_delay_alu instid0(VALU_DEP_4) | instskip(NEXT) | instid1(VALU_DEP_4)
	v_fma_f64 v[12:13], v[0:1], v[41:42], -v[43:44]
	v_fma_f64 v[14:15], v[2:3], v[41:42], -v[45:46]
	s_delay_alu instid0(VALU_DEP_4) | instskip(NEXT) | instid1(VALU_DEP_4)
	v_fma_f64 v[0:1], v[0:1], v[39:40], v[47:48]
	v_fma_f64 v[2:3], v[2:3], v[39:40], v[49:50]
	global_store_b128 v[9:10], v[12:15], off offset:16
	v_add_co_u32 v9, vcc_lo, v9, -16
	v_add_co_ci_u32_e32 v10, vcc_lo, -1, v10, vcc_lo
	s_cbranch_scc0 .LBB3_17
	s_branch .LBB3_15
.LBB3_18:                               ;   in Loop: Header=BB3_4 Depth=1
	s_or_b32 exec_lo, exec_lo, s82
	s_mov_b32 s2, 0
.LBB3_19:                               ;   in Loop: Header=BB3_4 Depth=1
	s_delay_alu instid0(SALU_CYCLE_1)
	s_and_not1_b32 vcc_lo, exec_lo, s2
	s_cbranch_vccnz .LBB3_3
; %bb.20:                               ;   in Loop: Header=BB3_4 Depth=1
	s_and_not1_b32 vcc_lo, exec_lo, s55
	s_mov_b32 s2, -1
	s_cbranch_vccnz .LBB3_27
; %bb.21:                               ;   in Loop: Header=BB3_4 Depth=1
	s_and_saveexec_b32 s82, s0
	s_cbranch_execz .LBB3_26
; %bb.22:                               ;   in Loop: Header=BB3_4 Depth=1
	v_add_co_u32 v5, vcc_lo, v20, s79
	v_add_co_ci_u32_e32 v6, vcc_lo, s76, v21, vcc_lo
	v_mov_b32_e32 v11, v4
	s_mov_b32 s83, 0
	s_branch .LBB3_24
.LBB3_23:                               ;   in Loop: Header=BB3_24 Depth=2
	v_add_nc_u32_e32 v11, s26, v11
	v_add_co_u32 v5, s2, v5, s36
	s_delay_alu instid0(VALU_DEP_1) | instskip(NEXT) | instid1(VALU_DEP_3)
	v_add_co_ci_u32_e64 v6, s2, s37, v6, s2
	v_cmp_le_i32_e32 vcc_lo, s52, v11
	s_waitcnt vmcnt(0)
	global_store_b128 v[7:8], v[0:3], off
	s_or_b32 s83, vcc_lo, s83
	s_delay_alu instid0(SALU_CYCLE_1)
	s_and_not1_b32 exec_lo, exec_lo, s83
	s_cbranch_execz .LBB3_26
.LBB3_24:                               ;   Parent Loop BB3_4 Depth=1
                                        ; =>  This Loop Header: Depth=2
                                        ;       Child Loop BB3_25 Depth 3
	s_delay_alu instid0(VALU_DEP_1) | instskip(SKIP_4) | instid1(VALU_DEP_2)
	v_mad_i64_i32 v[0:1], null, v11, s12, 0
	v_dual_mov_b32 v10, v6 :: v_dual_mov_b32 v9, v5
	s_mov_b32 s84, s30
	s_mov_b64 s[2:3], s[20:21]
	s_mov_b64 s[48:49], s[42:43]
	v_lshlrev_b64 v[0:1], 4, v[0:1]
	s_delay_alu instid0(VALU_DEP_1) | instskip(NEXT) | instid1(VALU_DEP_2)
	v_add_co_u32 v7, vcc_lo, s77, v0
	v_add_co_ci_u32_e32 v8, vcc_lo, s78, v1, vcc_lo
	s_and_not1_b32 vcc_lo, exec_lo, s54
	global_load_b128 v[0:3], v[7:8], off
	s_cbranch_vccnz .LBB3_23
	.p2align	6
.LBB3_25:                               ;   Parent Loop BB3_4 Depth=1
                                        ;     Parent Loop BB3_24 Depth=2
                                        ; =>    This Inner Loop Header: Depth=3
	s_clause 0x1
	global_load_b64 v[39:40], v38, s[48:49]
	global_load_b64 v[41:42], v38, s[2:3]
	global_load_b128 v[12:15], v[9:10], off
	s_add_u32 s48, s48, 8
	s_addc_u32 s49, s49, 0
	s_add_u32 s2, s2, 8
	s_addc_u32 s3, s3, 0
	s_add_i32 s84, s84, -1
	s_delay_alu instid0(SALU_CYCLE_1)
	s_cmp_eq_u32 s84, 0
	s_waitcnt vmcnt(2)
	v_mul_f64 v[43:44], v[0:1], v[39:40]
	v_mul_f64 v[45:46], v[2:3], v[39:40]
	s_waitcnt vmcnt(0)
	v_mul_f64 v[47:48], v[39:40], v[12:13]
	v_mul_f64 v[39:40], v[39:40], v[14:15]
	s_delay_alu instid0(VALU_DEP_4) | instskip(NEXT) | instid1(VALU_DEP_4)
	v_fma_f64 v[12:13], v[41:42], v[12:13], -v[43:44]
	v_fma_f64 v[14:15], v[41:42], v[14:15], -v[45:46]
	s_delay_alu instid0(VALU_DEP_4) | instskip(NEXT) | instid1(VALU_DEP_4)
	v_fma_f64 v[0:1], v[0:1], v[41:42], v[47:48]
	v_fma_f64 v[2:3], v[2:3], v[41:42], v[39:40]
	global_store_b128 v[9:10], v[12:15], off
	v_add_co_u32 v9, vcc_lo, v9, 16
	v_add_co_ci_u32_e32 v10, vcc_lo, 0, v10, vcc_lo
	s_cbranch_scc0 .LBB3_25
	s_branch .LBB3_23
.LBB3_26:                               ;   in Loop: Header=BB3_4 Depth=1
	s_or_b32 exec_lo, exec_lo, s82
	s_mov_b32 s2, 0
.LBB3_27:                               ;   in Loop: Header=BB3_4 Depth=1
	s_delay_alu instid0(SALU_CYCLE_1)
	s_and_not1_b32 vcc_lo, exec_lo, s2
	s_cbranch_vccnz .LBB3_3
; %bb.28:                               ;   in Loop: Header=BB3_4 Depth=1
	s_and_not1_b32 vcc_lo, exec_lo, s56
	s_mov_b32 s2, -1
	s_cbranch_vccnz .LBB3_35
; %bb.29:                               ;   in Loop: Header=BB3_4 Depth=1
	s_and_saveexec_b32 s82, s0
	s_cbranch_execz .LBB3_34
; %bb.30:                               ;   in Loop: Header=BB3_4 Depth=1
	v_add_co_u32 v5, vcc_lo, v24, s79
	v_add_co_ci_u32_e32 v6, vcc_lo, s76, v25, vcc_lo
	v_mov_b32_e32 v11, v4
	s_mov_b32 s83, 0
	s_branch .LBB3_32
.LBB3_31:                               ;   in Loop: Header=BB3_32 Depth=2
	v_add_nc_u32_e32 v11, s26, v11
	v_add_co_u32 v5, s2, v5, s36
	s_delay_alu instid0(VALU_DEP_1) | instskip(NEXT) | instid1(VALU_DEP_3)
	v_add_co_ci_u32_e64 v6, s2, s37, v6, s2
	v_cmp_le_i32_e32 vcc_lo, s52, v11
	s_waitcnt vmcnt(0)
	global_store_b128 v[7:8], v[0:3], off
	s_or_b32 s83, vcc_lo, s83
	s_delay_alu instid0(SALU_CYCLE_1)
	s_and_not1_b32 exec_lo, exec_lo, s83
	s_cbranch_execz .LBB3_34
.LBB3_32:                               ;   Parent Loop BB3_4 Depth=1
                                        ; =>  This Loop Header: Depth=2
                                        ;       Child Loop BB3_33 Depth 3
	s_delay_alu instid0(VALU_DEP_1) | instskip(SKIP_4) | instid1(VALU_DEP_2)
	v_mad_i64_i32 v[0:1], null, v11, s12, 0
	v_dual_mov_b32 v10, v6 :: v_dual_mov_b32 v9, v5
	s_mov_b64 s[2:3], s[46:47]
	s_mov_b64 s[48:49], s[44:45]
	s_mov_b32 s84, s71
	v_lshlrev_b64 v[0:1], 4, v[0:1]
	s_delay_alu instid0(VALU_DEP_1) | instskip(NEXT) | instid1(VALU_DEP_2)
	v_add_co_u32 v7, vcc_lo, s77, v0
	v_add_co_ci_u32_e32 v8, vcc_lo, s78, v1, vcc_lo
	s_and_not1_b32 vcc_lo, exec_lo, s54
	global_load_b128 v[0:3], v[7:8], off
	s_cbranch_vccnz .LBB3_31
	.p2align	6
.LBB3_33:                               ;   Parent Loop BB3_4 Depth=1
                                        ;     Parent Loop BB3_32 Depth=2
                                        ; =>    This Inner Loop Header: Depth=3
	s_clause 0x1
	global_load_b64 v[39:40], v38, s[2:3]
	global_load_b64 v[41:42], v38, s[48:49]
	global_load_b128 v[12:15], v[9:10], off offset:-8
	s_add_i32 s84, s84, -1
	s_add_u32 s48, s48, -8
	s_addc_u32 s49, s49, -1
	s_add_u32 s2, s2, -8
	s_addc_u32 s3, s3, -1
	s_cmp_lt_u32 s84, 3
	s_waitcnt vmcnt(2)
	v_mul_f64 v[43:44], v[0:1], v[39:40]
	v_mul_f64 v[45:46], v[2:3], v[39:40]
	s_waitcnt vmcnt(0)
	v_mul_f64 v[47:48], v[39:40], v[12:13]
	v_mul_f64 v[39:40], v[39:40], v[14:15]
	s_delay_alu instid0(VALU_DEP_4) | instskip(NEXT) | instid1(VALU_DEP_4)
	v_fma_f64 v[12:13], v[41:42], v[12:13], -v[43:44]
	v_fma_f64 v[14:15], v[41:42], v[14:15], -v[45:46]
	s_delay_alu instid0(VALU_DEP_4) | instskip(NEXT) | instid1(VALU_DEP_4)
	v_fma_f64 v[0:1], v[0:1], v[41:42], v[47:48]
	v_fma_f64 v[2:3], v[2:3], v[41:42], v[39:40]
	global_store_b128 v[9:10], v[12:15], off offset:-8
	v_add_co_u32 v9, vcc_lo, v9, -16
	v_add_co_ci_u32_e32 v10, vcc_lo, -1, v10, vcc_lo
	s_cbranch_scc0 .LBB3_33
	s_branch .LBB3_31
.LBB3_34:                               ;   in Loop: Header=BB3_4 Depth=1
	s_or_b32 exec_lo, exec_lo, s82
	s_mov_b32 s2, 0
.LBB3_35:                               ;   in Loop: Header=BB3_4 Depth=1
	s_delay_alu instid0(SALU_CYCLE_1)
	s_and_not1_b32 vcc_lo, exec_lo, s2
	s_cbranch_vccnz .LBB3_3
; %bb.36:                               ;   in Loop: Header=BB3_4 Depth=1
	s_and_not1_b32 vcc_lo, exec_lo, s57
	s_mov_b32 s2, -1
	s_cbranch_vccnz .LBB3_43
; %bb.37:                               ;   in Loop: Header=BB3_4 Depth=1
	s_and_saveexec_b32 s82, s0
	s_cbranch_execz .LBB3_42
; %bb.38:                               ;   in Loop: Header=BB3_4 Depth=1
	v_add_co_u32 v5, vcc_lo, v22, s79
	v_add_co_ci_u32_e32 v6, vcc_lo, s76, v23, vcc_lo
	s_lshl_b64 s[2:3], s[22:23], 4
	v_mov_b32_e32 v11, v4
	s_add_u32 s83, s77, s2
	s_addc_u32 s84, s78, s3
	s_mov_b32 s85, 0
	s_branch .LBB3_40
.LBB3_39:                               ;   in Loop: Header=BB3_40 Depth=2
	v_add_nc_u32_e32 v11, s26, v11
	v_add_co_u32 v5, s2, v5, s36
	s_delay_alu instid0(VALU_DEP_1) | instskip(NEXT) | instid1(VALU_DEP_3)
	v_add_co_ci_u32_e64 v6, s2, s37, v6, s2
	v_cmp_le_i32_e32 vcc_lo, s52, v11
	s_waitcnt vmcnt(0)
	global_store_b128 v[7:8], v[0:3], off offset:-16
	s_or_b32 s85, vcc_lo, s85
	s_delay_alu instid0(SALU_CYCLE_1)
	s_and_not1_b32 exec_lo, exec_lo, s85
	s_cbranch_execz .LBB3_42
.LBB3_40:                               ;   Parent Loop BB3_4 Depth=1
                                        ; =>  This Loop Header: Depth=2
                                        ;       Child Loop BB3_41 Depth 3
	v_mad_i64_i32 v[0:1], null, v11, s12, 0
	v_dual_mov_b32 v10, v6 :: v_dual_mov_b32 v9, v5
	s_mov_b64 s[2:3], s[42:43]
	s_mov_b64 s[48:49], s[20:21]
	s_mov_b32 s86, s30
	s_delay_alu instid0(VALU_DEP_2) | instskip(NEXT) | instid1(VALU_DEP_1)
	v_lshlrev_b64 v[0:1], 4, v[0:1]
	v_add_co_u32 v7, vcc_lo, s83, v0
	s_delay_alu instid0(VALU_DEP_2)
	v_add_co_ci_u32_e32 v8, vcc_lo, s84, v1, vcc_lo
	s_and_not1_b32 vcc_lo, exec_lo, s54
	global_load_b128 v[0:3], v[7:8], off offset:-16
	s_cbranch_vccnz .LBB3_39
	.p2align	6
.LBB3_41:                               ;   Parent Loop BB3_4 Depth=1
                                        ;     Parent Loop BB3_40 Depth=2
                                        ; =>    This Inner Loop Header: Depth=3
	global_load_b128 v[12:15], v[9:10], off offset:-8
	s_clause 0x1
	global_load_b64 v[39:40], v38, s[48:49]
	global_load_b64 v[41:42], v38, s[2:3]
	s_add_i32 s86, s86, -1
	s_add_u32 s48, s48, 8
	s_addc_u32 s49, s49, 0
	s_add_u32 s2, s2, 8
	s_addc_u32 s3, s3, 0
	s_cmp_eq_u32 s86, 0
	s_waitcnt vmcnt(1)
	v_mul_f64 v[43:44], v[39:40], v[12:13]
	v_mul_f64 v[45:46], v[39:40], v[14:15]
	s_waitcnt vmcnt(0)
	v_mul_f64 v[47:48], v[41:42], v[12:13]
	v_mul_f64 v[49:50], v[41:42], v[14:15]
	s_delay_alu instid0(VALU_DEP_4) | instskip(NEXT) | instid1(VALU_DEP_4)
	v_fma_f64 v[12:13], v[0:1], v[41:42], v[43:44]
	v_fma_f64 v[14:15], v[2:3], v[41:42], v[45:46]
	s_delay_alu instid0(VALU_DEP_4) | instskip(NEXT) | instid1(VALU_DEP_4)
	v_fma_f64 v[0:1], v[0:1], v[39:40], -v[47:48]
	v_fma_f64 v[2:3], v[2:3], v[39:40], -v[49:50]
	global_store_b128 v[9:10], v[12:15], off offset:-8
	v_add_co_u32 v9, vcc_lo, v9, 16
	v_add_co_ci_u32_e32 v10, vcc_lo, 0, v10, vcc_lo
	s_cbranch_scc0 .LBB3_41
	s_branch .LBB3_39
.LBB3_42:                               ;   in Loop: Header=BB3_4 Depth=1
	s_or_b32 exec_lo, exec_lo, s82
	s_mov_b32 s2, 0
.LBB3_43:                               ;   in Loop: Header=BB3_4 Depth=1
	s_delay_alu instid0(SALU_CYCLE_1)
	s_and_not1_b32 vcc_lo, exec_lo, s2
	s_cbranch_vccnz .LBB3_3
; %bb.44:                               ;   in Loop: Header=BB3_4 Depth=1
	s_and_not1_b32 vcc_lo, exec_lo, s58
	s_mov_b32 s2, -1
	s_cbranch_vccnz .LBB3_51
; %bb.45:                               ;   in Loop: Header=BB3_4 Depth=1
	s_and_saveexec_b32 s82, s0
	s_cbranch_execz .LBB3_50
; %bb.46:                               ;   in Loop: Header=BB3_4 Depth=1
	v_add_co_u32 v5, vcc_lo, v26, s79
	v_add_co_ci_u32_e32 v6, vcc_lo, s76, v27, vcc_lo
	s_lshl_b64 s[2:3], s[22:23], 4
	v_mov_b32_e32 v11, v4
	s_add_u32 s83, s77, s2
	s_addc_u32 s84, s78, s3
	s_mov_b32 s85, 0
	s_branch .LBB3_48
.LBB3_47:                               ;   in Loop: Header=BB3_48 Depth=2
	v_add_nc_u32_e32 v11, s26, v11
	v_add_co_u32 v5, s2, v5, s36
	s_delay_alu instid0(VALU_DEP_1) | instskip(NEXT) | instid1(VALU_DEP_3)
	v_add_co_ci_u32_e64 v6, s2, s37, v6, s2
	v_cmp_le_i32_e32 vcc_lo, s52, v11
	s_waitcnt vmcnt(0)
	global_store_b128 v[7:8], v[0:3], off offset:-16
	s_or_b32 s85, vcc_lo, s85
	s_delay_alu instid0(SALU_CYCLE_1)
	s_and_not1_b32 exec_lo, exec_lo, s85
	s_cbranch_execz .LBB3_50
.LBB3_48:                               ;   Parent Loop BB3_4 Depth=1
                                        ; =>  This Loop Header: Depth=2
                                        ;       Child Loop BB3_49 Depth 3
	v_mad_i64_i32 v[0:1], null, v11, s12, 0
	v_dual_mov_b32 v10, v6 :: v_dual_mov_b32 v9, v5
	s_mov_b64 s[2:3], s[46:47]
	s_mov_b64 s[48:49], s[44:45]
	s_mov_b32 s86, s30
	s_delay_alu instid0(VALU_DEP_2) | instskip(NEXT) | instid1(VALU_DEP_1)
	v_lshlrev_b64 v[0:1], 4, v[0:1]
	v_add_co_u32 v7, vcc_lo, s83, v0
	s_delay_alu instid0(VALU_DEP_2)
	v_add_co_ci_u32_e32 v8, vcc_lo, s84, v1, vcc_lo
	s_and_not1_b32 vcc_lo, exec_lo, s54
	global_load_b128 v[0:3], v[7:8], off offset:-16
	s_cbranch_vccnz .LBB3_47
	.p2align	6
.LBB3_49:                               ;   Parent Loop BB3_4 Depth=1
                                        ;     Parent Loop BB3_48 Depth=2
                                        ; =>    This Inner Loop Header: Depth=3
	global_load_b128 v[12:15], v[9:10], off offset:-8
	s_clause 0x1
	global_load_b64 v[39:40], v38, s[48:49]
	global_load_b64 v[41:42], v38, s[2:3]
	s_add_i32 s86, s86, -1
	s_add_u32 s48, s48, -8
	s_addc_u32 s49, s49, -1
	s_add_u32 s2, s2, -8
	s_addc_u32 s3, s3, -1
	s_cmp_eq_u32 s86, 0
	s_waitcnt vmcnt(1)
	v_mul_f64 v[43:44], v[39:40], v[12:13]
	v_mul_f64 v[45:46], v[39:40], v[14:15]
	s_waitcnt vmcnt(0)
	v_mul_f64 v[47:48], v[41:42], v[12:13]
	v_mul_f64 v[49:50], v[41:42], v[14:15]
	s_delay_alu instid0(VALU_DEP_4) | instskip(NEXT) | instid1(VALU_DEP_4)
	v_fma_f64 v[12:13], v[0:1], v[41:42], v[43:44]
	v_fma_f64 v[14:15], v[2:3], v[41:42], v[45:46]
	s_delay_alu instid0(VALU_DEP_4) | instskip(NEXT) | instid1(VALU_DEP_4)
	v_fma_f64 v[0:1], v[0:1], v[39:40], -v[47:48]
	v_fma_f64 v[2:3], v[2:3], v[39:40], -v[49:50]
	global_store_b128 v[9:10], v[12:15], off offset:-8
	v_add_co_u32 v9, vcc_lo, v9, -16
	v_add_co_ci_u32_e32 v10, vcc_lo, -1, v10, vcc_lo
	s_cbranch_scc0 .LBB3_49
	s_branch .LBB3_47
.LBB3_50:                               ;   in Loop: Header=BB3_4 Depth=1
	s_or_b32 exec_lo, exec_lo, s82
	s_mov_b32 s2, 0
.LBB3_51:                               ;   in Loop: Header=BB3_4 Depth=1
	s_delay_alu instid0(SALU_CYCLE_1)
	s_and_not1_b32 vcc_lo, exec_lo, s2
	s_cbranch_vccnz .LBB3_3
; %bb.52:                               ;   in Loop: Header=BB3_4 Depth=1
	v_add_co_u32 v5, vcc_lo, v28, s79
	v_add_co_ci_u32_e32 v6, vcc_lo, s76, v29, vcc_lo
	s_and_not1_b32 vcc_lo, exec_lo, s59
	s_mov_b32 s2, -1
	s_cbranch_vccnz .LBB3_59
; %bb.53:                               ;   in Loop: Header=BB3_4 Depth=1
	s_and_saveexec_b32 s46, s1
	s_cbranch_execz .LBB3_58
; %bb.54:                               ;   in Loop: Header=BB3_4 Depth=1
	s_lshl_b64 s[2:3], s[28:29], 4
	v_dual_mov_b32 v8, v6 :: v_dual_mov_b32 v7, v5
	v_mov_b32_e32 v9, v4
	s_add_u32 s47, s77, s2
	s_addc_u32 s48, s78, s3
	s_mov_b32 s49, 0
	s_branch .LBB3_56
.LBB3_55:                               ;   in Loop: Header=BB3_56 Depth=2
	v_add_nc_u32_e32 v9, s26, v9
	v_add_co_u32 v10, vcc_lo, s47, v10
	v_add_co_ci_u32_e32 v11, vcc_lo, s48, v11, vcc_lo
	s_delay_alu instid0(VALU_DEP_3) | instskip(SKIP_1) | instid1(VALU_DEP_1)
	v_cmp_le_i32_e32 vcc_lo, s19, v9
	v_add_co_u32 v7, s2, v7, s38
	v_add_co_ci_u32_e64 v8, s2, s39, v8, s2
	s_or_b32 s49, vcc_lo, s49
	s_waitcnt vmcnt(0)
	global_store_b128 v[10:11], v[0:3], off
	s_and_not1_b32 exec_lo, exec_lo, s49
	s_cbranch_execz .LBB3_58
.LBB3_56:                               ;   Parent Loop BB3_4 Depth=1
                                        ; =>  This Loop Header: Depth=2
                                        ;       Child Loop BB3_57 Depth 3
	v_ashrrev_i32_e32 v10, 31, v9
	v_dual_mov_b32 v13, v8 :: v_dual_mov_b32 v12, v7
	s_mov_b64 s[2:3], s[42:43]
	s_mov_b64 s[44:45], s[20:21]
	s_delay_alu instid0(VALU_DEP_2) | instskip(SKIP_1) | instid1(VALU_DEP_1)
	v_lshlrev_b64 v[10:11], 4, v[9:10]
	s_mov_b32 s82, s60
	v_add_co_u32 v0, vcc_lo, s77, v10
	s_delay_alu instid0(VALU_DEP_2)
	v_add_co_ci_u32_e32 v1, vcc_lo, s78, v11, vcc_lo
	s_and_not1_b32 vcc_lo, exec_lo, s62
	global_load_b128 v[0:3], v[0:1], off
	s_cbranch_vccnz .LBB3_55
	.p2align	6
.LBB3_57:                               ;   Parent Loop BB3_4 Depth=1
                                        ;     Parent Loop BB3_56 Depth=2
                                        ; =>    This Inner Loop Header: Depth=3
	s_delay_alu instid0(VALU_DEP_1) | instskip(NEXT) | instid1(VALU_DEP_2)
	v_add_co_u32 v14, vcc_lo, v12, s40
	v_add_co_ci_u32_e32 v15, vcc_lo, s41, v13, vcc_lo
	s_add_i32 s82, s82, -1
	global_load_b64 v[43:44], v38, s[2:3]
	global_load_b128 v[39:42], v[14:15], off offset:-8
	global_load_b64 v[47:48], v38, s[44:45]
	s_add_u32 s44, s44, 8
	s_addc_u32 s45, s45, 0
	s_add_u32 s2, s2, 8
	s_addc_u32 s3, s3, 0
	s_cmp_eq_u32 s82, 0
	s_waitcnt vmcnt(2)
	v_mul_f64 v[51:52], v[0:1], v[43:44]
	s_waitcnt vmcnt(1)
	v_mul_f64 v[45:46], v[43:44], v[39:40]
	v_mul_f64 v[49:50], v[43:44], v[41:42]
	;; [unrolled: 1-line block ×3, first 2 shown]
	s_waitcnt vmcnt(0)
	s_delay_alu instid0(VALU_DEP_3) | instskip(NEXT) | instid1(VALU_DEP_3)
	v_fma_f64 v[43:44], v[0:1], v[47:48], v[45:46]
	v_fma_f64 v[45:46], v[2:3], v[47:48], v[49:50]
	v_fma_f64 v[0:1], v[47:48], v[39:40], -v[51:52]
	s_delay_alu instid0(VALU_DEP_4)
	v_fma_f64 v[2:3], v[47:48], v[41:42], -v[53:54]
	global_store_b128 v[12:13], v[43:46], off offset:-8
	v_dual_mov_b32 v12, v14 :: v_dual_mov_b32 v13, v15
	s_cbranch_scc0 .LBB3_57
	s_branch .LBB3_55
.LBB3_58:                               ;   in Loop: Header=BB3_4 Depth=1
	s_or_b32 exec_lo, exec_lo, s46
	s_mov_b32 s2, 0
.LBB3_59:                               ;   in Loop: Header=BB3_4 Depth=1
	s_delay_alu instid0(SALU_CYCLE_1)
	s_and_not1_b32 vcc_lo, exec_lo, s2
	s_cbranch_vccnz .LBB3_3
; %bb.60:                               ;   in Loop: Header=BB3_4 Depth=1
	v_add_co_u32 v7, vcc_lo, v32, s79
	s_add_u32 s44, s13, s80
	v_add_co_ci_u32_e32 v8, vcc_lo, s76, v33, vcc_lo
	s_addc_u32 s45, s27, s50
	s_add_u32 s46, s31, s81
	s_addc_u32 s47, s72, s51
	s_and_not1_b32 vcc_lo, exec_lo, s61
	s_mov_b32 s2, -1
	s_cbranch_vccnz .LBB3_68
; %bb.61:                               ;   in Loop: Header=BB3_4 Depth=1
	s_and_saveexec_b32 s80, s1
	s_cbranch_execz .LBB3_67
; %bb.62:                               ;   in Loop: Header=BB3_4 Depth=1
	v_add_co_u32 v14, vcc_lo, v30, s79
	v_add_co_ci_u32_e32 v15, vcc_lo, s76, v31, vcc_lo
	s_lshl_b64 s[2:3], s[28:29], 4
	v_dual_mov_b32 v10, v8 :: v_dual_mov_b32 v9, v7
	v_mov_b32_e32 v11, v4
	s_add_u32 s81, s77, s2
	s_addc_u32 s82, s78, s3
	s_mov_b32 s83, 0
	s_branch .LBB3_64
.LBB3_63:                               ;   in Loop: Header=BB3_64 Depth=2
	s_set_inst_prefetch_distance 0x2
	v_add_co_u32 v12, vcc_lo, s77, v12
	v_add_nc_u32_e32 v11, s26, v11
	v_add_co_ci_u32_e32 v13, vcc_lo, s78, v13, vcc_lo
	v_add_co_u32 v14, vcc_lo, v14, s38
	v_add_co_ci_u32_e32 v15, vcc_lo, s39, v15, vcc_lo
	s_delay_alu instid0(VALU_DEP_4) | instskip(SKIP_1) | instid1(VALU_DEP_1)
	v_cmp_le_i32_e32 vcc_lo, s19, v11
	v_add_co_u32 v9, s2, v9, s38
	v_add_co_ci_u32_e64 v10, s2, s39, v10, s2
	s_or_b32 s83, vcc_lo, s83
	s_waitcnt vmcnt(0)
	global_store_b128 v[12:13], v[0:3], off
	s_and_not1_b32 exec_lo, exec_lo, s83
	s_cbranch_execz .LBB3_67
.LBB3_64:                               ;   Parent Loop BB3_4 Depth=1
                                        ; =>  This Loop Header: Depth=2
                                        ;       Child Loop BB3_66 Depth 3
	v_ashrrev_i32_e32 v12, 31, v11
	s_delay_alu instid0(VALU_DEP_1) | instskip(NEXT) | instid1(VALU_DEP_1)
	v_lshlrev_b64 v[12:13], 4, v[11:12]
	v_add_co_u32 v0, vcc_lo, s81, v12
	s_delay_alu instid0(VALU_DEP_2)
	v_add_co_ci_u32_e32 v1, vcc_lo, s82, v13, vcc_lo
	s_and_not1_b32 vcc_lo, exec_lo, s62
	global_load_b128 v[0:3], v[0:1], off
	s_cbranch_vccnz .LBB3_63
; %bb.65:                               ;   in Loop: Header=BB3_64 Depth=2
	s_mov_b64 s[2:3], 0
	s_mov_b64 s[48:49], s[46:47]
	;; [unrolled: 1-line block ×3, first 2 shown]
	s_mov_b32 s84, s60
	s_set_inst_prefetch_distance 0x1
	.p2align	6
.LBB3_66:                               ;   Parent Loop BB3_4 Depth=1
                                        ;     Parent Loop BB3_64 Depth=2
                                        ; =>    This Inner Loop Header: Depth=3
	v_add_co_u32 v39, vcc_lo, v14, s2
	v_add_co_ci_u32_e32 v40, vcc_lo, s3, v15, vcc_lo
	s_add_i32 s84, s84, -1
	s_clause 0x1
	global_load_b64 v[43:44], v38, s[50:51]
	global_load_b64 v[45:46], v38, s[48:49]
	global_load_b128 v[39:42], v[39:40], off
	s_waitcnt vmcnt(0)
	v_mul_f64 v[47:48], v[45:46], v[39:40]
	v_mul_f64 v[49:50], v[45:46], v[41:42]
	;; [unrolled: 1-line block ×4, first 2 shown]
	s_delay_alu instid0(VALU_DEP_4) | instskip(NEXT) | instid1(VALU_DEP_4)
	v_fma_f64 v[39:40], v[0:1], v[43:44], -v[47:48]
	v_fma_f64 v[41:42], v[2:3], v[43:44], -v[49:50]
	s_delay_alu instid0(VALU_DEP_4) | instskip(NEXT) | instid1(VALU_DEP_4)
	v_fma_f64 v[0:1], v[0:1], v[45:46], v[51:52]
	v_fma_f64 v[2:3], v[2:3], v[45:46], v[53:54]
	v_add_co_u32 v43, vcc_lo, v9, s2
	s_sub_u32 s2, s2, s40
	v_add_co_ci_u32_e32 v44, vcc_lo, s3, v10, vcc_lo
	s_subb_u32 s3, s3, s41
	s_add_u32 s50, s50, -8
	s_addc_u32 s51, s51, -1
	s_add_u32 s48, s48, -8
	s_addc_u32 s49, s49, -1
	s_cmp_eq_u32 s84, 0
	global_store_b128 v[43:44], v[39:42], off offset:-8
	s_cbranch_scc0 .LBB3_66
	s_branch .LBB3_63
.LBB3_67:                               ;   in Loop: Header=BB3_4 Depth=1
	s_or_b32 exec_lo, exec_lo, s80
	s_mov_b32 s2, 0
.LBB3_68:                               ;   in Loop: Header=BB3_4 Depth=1
	s_delay_alu instid0(SALU_CYCLE_1)
	s_and_not1_b32 vcc_lo, exec_lo, s2
	s_cbranch_vccnz .LBB3_3
; %bb.69:                               ;   in Loop: Header=BB3_4 Depth=1
	s_and_not1_b32 vcc_lo, exec_lo, s63
	s_mov_b32 s2, -1
	s_cbranch_vccnz .LBB3_76
; %bb.70:                               ;   in Loop: Header=BB3_4 Depth=1
	s_and_saveexec_b32 s50, s1
	s_cbranch_execz .LBB3_75
; %bb.71:                               ;   in Loop: Header=BB3_4 Depth=1
	v_add_co_u32 v9, vcc_lo, v34, s79
	v_add_co_ci_u32_e32 v10, vcc_lo, s76, v35, vcc_lo
	v_mov_b32_e32 v11, v4
	s_mov_b32 s51, 0
	s_branch .LBB3_73
.LBB3_72:                               ;   in Loop: Header=BB3_73 Depth=2
	v_add_nc_u32_e32 v11, s26, v11
	v_add_co_u32 v9, s2, v9, s38
	s_delay_alu instid0(VALU_DEP_1) | instskip(NEXT) | instid1(VALU_DEP_3)
	v_add_co_ci_u32_e64 v10, s2, s39, v10, s2
	v_cmp_le_i32_e32 vcc_lo, s19, v11
	s_waitcnt vmcnt(0)
	global_store_b128 v[12:13], v[0:3], off
	s_or_b32 s51, vcc_lo, s51
	s_delay_alu instid0(SALU_CYCLE_1)
	s_and_not1_b32 exec_lo, exec_lo, s51
	s_cbranch_execz .LBB3_75
.LBB3_73:                               ;   Parent Loop BB3_4 Depth=1
                                        ; =>  This Loop Header: Depth=2
                                        ;       Child Loop BB3_74 Depth 3
	s_delay_alu instid0(VALU_DEP_1) | instskip(SKIP_3) | instid1(VALU_DEP_2)
	v_ashrrev_i32_e32 v12, 31, v11
	v_dual_mov_b32 v15, v10 :: v_dual_mov_b32 v14, v9
	s_mov_b32 s80, s60
	s_mov_b64 s[2:3], s[20:21]
	v_lshlrev_b64 v[0:1], 4, v[11:12]
	s_mov_b64 s[48:49], s[42:43]
	s_delay_alu instid0(VALU_DEP_1) | instskip(NEXT) | instid1(VALU_DEP_2)
	v_add_co_u32 v12, vcc_lo, s77, v0
	v_add_co_ci_u32_e32 v13, vcc_lo, s78, v1, vcc_lo
	s_and_not1_b32 vcc_lo, exec_lo, s62
	global_load_b128 v[0:3], v[12:13], off
	s_cbranch_vccnz .LBB3_72
	.p2align	6
.LBB3_74:                               ;   Parent Loop BB3_4 Depth=1
                                        ;     Parent Loop BB3_73 Depth=2
                                        ; =>    This Inner Loop Header: Depth=3
	s_clause 0x1
	global_load_b64 v[43:44], v38, s[48:49]
	global_load_b64 v[45:46], v38, s[2:3]
	global_load_b128 v[39:42], v[14:15], off offset:-8
	s_add_u32 s48, s48, 8
	s_addc_u32 s49, s49, 0
	s_add_u32 s2, s2, 8
	s_addc_u32 s3, s3, 0
	s_add_i32 s80, s80, -1
	s_delay_alu instid0(SALU_CYCLE_1)
	s_cmp_eq_u32 s80, 0
	s_waitcnt vmcnt(2)
	v_mul_f64 v[47:48], v[0:1], v[43:44]
	v_mul_f64 v[49:50], v[2:3], v[43:44]
	s_waitcnt vmcnt(0)
	v_mul_f64 v[51:52], v[43:44], v[39:40]
	v_mul_f64 v[43:44], v[43:44], v[41:42]
	s_delay_alu instid0(VALU_DEP_4) | instskip(NEXT) | instid1(VALU_DEP_4)
	v_fma_f64 v[39:40], v[45:46], v[39:40], -v[47:48]
	v_fma_f64 v[41:42], v[45:46], v[41:42], -v[49:50]
	s_delay_alu instid0(VALU_DEP_4) | instskip(NEXT) | instid1(VALU_DEP_4)
	v_fma_f64 v[0:1], v[0:1], v[45:46], v[51:52]
	v_fma_f64 v[2:3], v[2:3], v[45:46], v[43:44]
	global_store_b128 v[14:15], v[39:42], off offset:-8
	v_add_co_u32 v14, vcc_lo, v14, s40
	v_add_co_ci_u32_e32 v15, vcc_lo, s41, v15, vcc_lo
	s_cbranch_scc0 .LBB3_74
	s_branch .LBB3_72
.LBB3_75:                               ;   in Loop: Header=BB3_4 Depth=1
	s_or_b32 exec_lo, exec_lo, s50
	s_mov_b32 s2, 0
.LBB3_76:                               ;   in Loop: Header=BB3_4 Depth=1
	s_delay_alu instid0(SALU_CYCLE_1)
	s_and_not1_b32 vcc_lo, exec_lo, s2
	s_cbranch_vccnz .LBB3_3
; %bb.77:                               ;   in Loop: Header=BB3_4 Depth=1
	s_and_not1_b32 vcc_lo, exec_lo, s64
	s_mov_b32 s2, -1
	s_cbranch_vccnz .LBB3_84
; %bb.78:                               ;   in Loop: Header=BB3_4 Depth=1
	s_and_saveexec_b32 s50, s1
	s_cbranch_execz .LBB3_83
; %bb.79:                               ;   in Loop: Header=BB3_4 Depth=1
	v_mov_b32_e32 v9, v4
	s_mov_b32 s51, 0
	s_branch .LBB3_81
.LBB3_80:                               ;   in Loop: Header=BB3_81 Depth=2
	v_add_nc_u32_e32 v9, s26, v9
	v_add_co_u32 v7, s2, v7, s38
	s_delay_alu instid0(VALU_DEP_1) | instskip(NEXT) | instid1(VALU_DEP_3)
	v_add_co_ci_u32_e64 v8, s2, s39, v8, s2
	v_cmp_le_i32_e32 vcc_lo, s19, v9
	s_waitcnt vmcnt(0)
	global_store_b128 v[10:11], v[0:3], off
	s_or_b32 s51, vcc_lo, s51
	s_delay_alu instid0(SALU_CYCLE_1)
	s_and_not1_b32 exec_lo, exec_lo, s51
	s_cbranch_execz .LBB3_83
.LBB3_81:                               ;   Parent Loop BB3_4 Depth=1
                                        ; =>  This Loop Header: Depth=2
                                        ;       Child Loop BB3_82 Depth 3
	s_delay_alu instid0(VALU_DEP_1) | instskip(SKIP_3) | instid1(VALU_DEP_2)
	v_ashrrev_i32_e32 v10, 31, v9
	v_dual_mov_b32 v13, v8 :: v_dual_mov_b32 v12, v7
	s_mov_b64 s[2:3], s[46:47]
	s_mov_b64 s[48:49], s[44:45]
	v_lshlrev_b64 v[0:1], 4, v[9:10]
	s_mov_b32 s80, s73
	s_delay_alu instid0(VALU_DEP_1) | instskip(NEXT) | instid1(VALU_DEP_2)
	v_add_co_u32 v10, vcc_lo, s77, v0
	v_add_co_ci_u32_e32 v11, vcc_lo, s78, v1, vcc_lo
	s_and_not1_b32 vcc_lo, exec_lo, s62
	global_load_b128 v[0:3], v[10:11], off
	s_cbranch_vccnz .LBB3_80
	.p2align	6
.LBB3_82:                               ;   Parent Loop BB3_4 Depth=1
                                        ;     Parent Loop BB3_81 Depth=2
                                        ; =>    This Inner Loop Header: Depth=3
	s_clause 0x1
	global_load_b64 v[14:15], v38, s[2:3]
	global_load_b64 v[43:44], v38, s[48:49]
	global_load_b128 v[39:42], v[12:13], off offset:-8
	s_add_i32 s80, s80, -1
	s_add_u32 s48, s48, -8
	s_addc_u32 s49, s49, -1
	s_add_u32 s2, s2, -8
	s_addc_u32 s3, s3, -1
	s_cmp_lt_u32 s80, 3
	s_waitcnt vmcnt(2)
	v_mul_f64 v[45:46], v[0:1], v[14:15]
	v_mul_f64 v[47:48], v[2:3], v[14:15]
	s_waitcnt vmcnt(0)
	v_mul_f64 v[49:50], v[14:15], v[39:40]
	v_mul_f64 v[14:15], v[14:15], v[41:42]
	s_delay_alu instid0(VALU_DEP_4) | instskip(NEXT) | instid1(VALU_DEP_4)
	v_fma_f64 v[39:40], v[43:44], v[39:40], -v[45:46]
	v_fma_f64 v[41:42], v[43:44], v[41:42], -v[47:48]
	s_delay_alu instid0(VALU_DEP_4) | instskip(NEXT) | instid1(VALU_DEP_4)
	v_fma_f64 v[0:1], v[0:1], v[43:44], v[49:50]
	v_fma_f64 v[2:3], v[2:3], v[43:44], v[14:15]
	global_store_b128 v[12:13], v[39:42], off offset:-8
	v_add_co_u32 v12, vcc_lo, v12, s74
	v_add_co_ci_u32_e32 v13, vcc_lo, s75, v13, vcc_lo
	s_cbranch_scc0 .LBB3_82
	s_branch .LBB3_80
.LBB3_83:                               ;   in Loop: Header=BB3_4 Depth=1
	s_or_b32 exec_lo, exec_lo, s50
	s_mov_b32 s2, 0
.LBB3_84:                               ;   in Loop: Header=BB3_4 Depth=1
	s_delay_alu instid0(SALU_CYCLE_1)
	s_and_not1_b32 vcc_lo, exec_lo, s2
	s_cbranch_vccnz .LBB3_3
; %bb.85:                               ;   in Loop: Header=BB3_4 Depth=1
	s_and_not1_b32 vcc_lo, exec_lo, s65
	s_mov_b32 s2, -1
	s_cbranch_vccnz .LBB3_92
; %bb.86:                               ;   in Loop: Header=BB3_4 Depth=1
	s_and_saveexec_b32 s50, s1
	s_cbranch_execz .LBB3_91
; %bb.87:                               ;   in Loop: Header=BB3_4 Depth=1
	s_lshl_b64 s[2:3], s[28:29], 4
	v_mov_b32_e32 v7, v4
	s_add_u32 s51, s77, s2
	s_addc_u32 s80, s78, s3
	s_mov_b32 s81, 0
	s_branch .LBB3_89
.LBB3_88:                               ;   in Loop: Header=BB3_89 Depth=2
	v_add_nc_u32_e32 v7, s26, v7
	v_add_co_u32 v5, s2, v5, s38
	s_delay_alu instid0(VALU_DEP_1) | instskip(NEXT) | instid1(VALU_DEP_3)
	v_add_co_ci_u32_e64 v6, s2, s39, v6, s2
	v_cmp_le_i32_e32 vcc_lo, s19, v7
	s_waitcnt vmcnt(0)
	global_store_b128 v[8:9], v[0:3], off
	s_or_b32 s81, vcc_lo, s81
	s_delay_alu instid0(SALU_CYCLE_1)
	s_and_not1_b32 exec_lo, exec_lo, s81
	s_cbranch_execz .LBB3_91
.LBB3_89:                               ;   Parent Loop BB3_4 Depth=1
                                        ; =>  This Loop Header: Depth=2
                                        ;       Child Loop BB3_90 Depth 3
	v_ashrrev_i32_e32 v8, 31, v7
	v_dual_mov_b32 v11, v6 :: v_dual_mov_b32 v10, v5
	s_mov_b64 s[2:3], s[42:43]
	s_mov_b64 s[48:49], s[20:21]
	s_delay_alu instid0(VALU_DEP_2) | instskip(SKIP_1) | instid1(VALU_DEP_1)
	v_lshlrev_b64 v[0:1], 4, v[7:8]
	s_mov_b32 s82, s60
	v_add_co_u32 v8, vcc_lo, s51, v0
	s_delay_alu instid0(VALU_DEP_2)
	v_add_co_ci_u32_e32 v9, vcc_lo, s80, v1, vcc_lo
	s_and_not1_b32 vcc_lo, exec_lo, s62
	global_load_b128 v[0:3], v[8:9], off
	s_cbranch_vccnz .LBB3_88
	.p2align	6
.LBB3_90:                               ;   Parent Loop BB3_4 Depth=1
                                        ;     Parent Loop BB3_89 Depth=2
                                        ; =>    This Inner Loop Header: Depth=3
	global_load_b128 v[12:15], v[10:11], off offset:-8
	s_clause 0x1
	global_load_b64 v[39:40], v38, s[48:49]
	global_load_b64 v[41:42], v38, s[2:3]
	s_add_i32 s82, s82, -1
	s_add_u32 s48, s48, 8
	s_addc_u32 s49, s49, 0
	s_add_u32 s2, s2, 8
	s_addc_u32 s3, s3, 0
	s_cmp_eq_u32 s82, 0
	s_waitcnt vmcnt(1)
	v_mul_f64 v[43:44], v[39:40], v[12:13]
	v_mul_f64 v[45:46], v[39:40], v[14:15]
	s_waitcnt vmcnt(0)
	v_mul_f64 v[47:48], v[41:42], v[12:13]
	v_mul_f64 v[49:50], v[41:42], v[14:15]
	s_delay_alu instid0(VALU_DEP_4) | instskip(NEXT) | instid1(VALU_DEP_4)
	v_fma_f64 v[12:13], v[0:1], v[41:42], v[43:44]
	v_fma_f64 v[14:15], v[2:3], v[41:42], v[45:46]
	s_delay_alu instid0(VALU_DEP_4) | instskip(NEXT) | instid1(VALU_DEP_4)
	v_fma_f64 v[0:1], v[0:1], v[39:40], -v[47:48]
	v_fma_f64 v[2:3], v[2:3], v[39:40], -v[49:50]
	global_store_b128 v[10:11], v[12:15], off offset:-8
	v_add_co_u32 v10, vcc_lo, v10, s40
	v_add_co_ci_u32_e32 v11, vcc_lo, s41, v11, vcc_lo
	s_cbranch_scc0 .LBB3_90
	s_branch .LBB3_88
.LBB3_91:                               ;   in Loop: Header=BB3_4 Depth=1
	s_or_b32 exec_lo, exec_lo, s50
	s_mov_b32 s2, 0
.LBB3_92:                               ;   in Loop: Header=BB3_4 Depth=1
	s_delay_alu instid0(SALU_CYCLE_1)
	s_and_not1_b32 vcc_lo, exec_lo, s2
	s_cbranch_vccnz .LBB3_3
; %bb.93:                               ;   in Loop: Header=BB3_4 Depth=1
	s_and_saveexec_b32 s42, s66
	s_cbranch_execz .LBB3_2
; %bb.94:                               ;   in Loop: Header=BB3_4 Depth=1
	v_add_co_u32 v5, vcc_lo, v36, s79
	v_add_co_ci_u32_e32 v6, vcc_lo, s76, v37, vcc_lo
	s_lshl_b64 s[2:3], s[28:29], 4
	v_mov_b32_e32 v7, v4
	s_add_u32 s43, s77, s2
	s_addc_u32 s48, s78, s3
	s_mov_b32 s49, 0
	s_branch .LBB3_96
.LBB3_95:                               ;   in Loop: Header=BB3_96 Depth=2
	v_add_nc_u32_e32 v7, s26, v7
	v_add_co_u32 v5, s2, v5, s38
	s_delay_alu instid0(VALU_DEP_1) | instskip(NEXT) | instid1(VALU_DEP_3)
	v_add_co_ci_u32_e64 v6, s2, s39, v6, s2
	v_cmp_le_i32_e32 vcc_lo, s19, v7
	s_waitcnt vmcnt(0)
	global_store_b128 v[8:9], v[0:3], off
	s_or_b32 s49, vcc_lo, s49
	s_delay_alu instid0(SALU_CYCLE_1)
	s_and_not1_b32 exec_lo, exec_lo, s49
	s_cbranch_execz .LBB3_2
.LBB3_96:                               ;   Parent Loop BB3_4 Depth=1
                                        ; =>  This Loop Header: Depth=2
                                        ;       Child Loop BB3_97 Depth 3
	v_ashrrev_i32_e32 v8, 31, v7
	v_dual_mov_b32 v11, v6 :: v_dual_mov_b32 v10, v5
	s_mov_b64 s[2:3], s[46:47]
	s_mov_b64 s[20:21], s[44:45]
	s_delay_alu instid0(VALU_DEP_2) | instskip(SKIP_1) | instid1(VALU_DEP_1)
	v_lshlrev_b64 v[0:1], 4, v[7:8]
	s_mov_b32 s50, s60
	v_add_co_u32 v8, vcc_lo, s43, v0
	s_delay_alu instid0(VALU_DEP_2)
	v_add_co_ci_u32_e32 v9, vcc_lo, s48, v1, vcc_lo
	s_and_not1_b32 vcc_lo, exec_lo, s62
	global_load_b128 v[0:3], v[8:9], off
	s_cbranch_vccnz .LBB3_95
	.p2align	6
.LBB3_97:                               ;   Parent Loop BB3_4 Depth=1
                                        ;     Parent Loop BB3_96 Depth=2
                                        ; =>    This Inner Loop Header: Depth=3
	global_load_b128 v[12:15], v[10:11], off offset:-8
	s_clause 0x1
	global_load_b64 v[39:40], v38, s[20:21]
	global_load_b64 v[41:42], v38, s[2:3]
	s_add_i32 s50, s50, -1
	s_add_u32 s20, s20, -8
	s_addc_u32 s21, s21, -1
	s_add_u32 s2, s2, -8
	s_addc_u32 s3, s3, -1
	s_cmp_eq_u32 s50, 0
	s_waitcnt vmcnt(1)
	v_mul_f64 v[43:44], v[39:40], v[12:13]
	v_mul_f64 v[45:46], v[39:40], v[14:15]
	s_waitcnt vmcnt(0)
	v_mul_f64 v[47:48], v[41:42], v[12:13]
	v_mul_f64 v[49:50], v[41:42], v[14:15]
	s_delay_alu instid0(VALU_DEP_4) | instskip(NEXT) | instid1(VALU_DEP_4)
	v_fma_f64 v[12:13], v[0:1], v[41:42], v[43:44]
	v_fma_f64 v[14:15], v[2:3], v[41:42], v[45:46]
	s_delay_alu instid0(VALU_DEP_4) | instskip(NEXT) | instid1(VALU_DEP_4)
	v_fma_f64 v[0:1], v[0:1], v[39:40], -v[47:48]
	v_fma_f64 v[2:3], v[2:3], v[39:40], -v[49:50]
	global_store_b128 v[10:11], v[12:15], off offset:-8
	v_add_co_u32 v10, vcc_lo, v10, s74
	v_add_co_ci_u32_e32 v11, vcc_lo, s75, v11, vcc_lo
	s_cbranch_scc0 .LBB3_97
	s_branch .LBB3_95
.LBB3_98:
	s_nop 0
	s_sendmsg sendmsg(MSG_DEALLOC_VGPRS)
	s_endpgm
	.section	.rodata,"a",@progbits
	.p2align	6, 0x0
	.amdhsa_kernel _ZN9rocsolver6v33100L11lasr_kernelI19rocblas_complex_numIdEdPS3_iEEv13rocblas_side_14rocblas_pivot_15rocblas_direct_T2_S8_PT0_lSA_lT1_lS8_lS8_
		.amdhsa_group_segment_fixed_size 0
		.amdhsa_private_segment_fixed_size 0
		.amdhsa_kernarg_size 352
		.amdhsa_user_sgpr_count 14
		.amdhsa_user_sgpr_dispatch_ptr 0
		.amdhsa_user_sgpr_queue_ptr 0
		.amdhsa_user_sgpr_kernarg_segment_ptr 1
		.amdhsa_user_sgpr_dispatch_id 0
		.amdhsa_user_sgpr_private_segment_size 0
		.amdhsa_wavefront_size32 1
		.amdhsa_uses_dynamic_stack 0
		.amdhsa_enable_private_segment 0
		.amdhsa_system_sgpr_workgroup_id_x 1
		.amdhsa_system_sgpr_workgroup_id_y 0
		.amdhsa_system_sgpr_workgroup_id_z 1
		.amdhsa_system_sgpr_workgroup_info 0
		.amdhsa_system_vgpr_workitem_id 0
		.amdhsa_next_free_vgpr 55
		.amdhsa_next_free_sgpr 87
		.amdhsa_reserve_vcc 1
		.amdhsa_float_round_mode_32 0
		.amdhsa_float_round_mode_16_64 0
		.amdhsa_float_denorm_mode_32 3
		.amdhsa_float_denorm_mode_16_64 3
		.amdhsa_dx10_clamp 1
		.amdhsa_ieee_mode 1
		.amdhsa_fp16_overflow 0
		.amdhsa_workgroup_processor_mode 1
		.amdhsa_memory_ordered 1
		.amdhsa_forward_progress 0
		.amdhsa_shared_vgpr_count 0
		.amdhsa_exception_fp_ieee_invalid_op 0
		.amdhsa_exception_fp_denorm_src 0
		.amdhsa_exception_fp_ieee_div_zero 0
		.amdhsa_exception_fp_ieee_overflow 0
		.amdhsa_exception_fp_ieee_underflow 0
		.amdhsa_exception_fp_ieee_inexact 0
		.amdhsa_exception_int_div_zero 0
	.end_amdhsa_kernel
	.section	.text._ZN9rocsolver6v33100L11lasr_kernelI19rocblas_complex_numIdEdPS3_iEEv13rocblas_side_14rocblas_pivot_15rocblas_direct_T2_S8_PT0_lSA_lT1_lS8_lS8_,"axG",@progbits,_ZN9rocsolver6v33100L11lasr_kernelI19rocblas_complex_numIdEdPS3_iEEv13rocblas_side_14rocblas_pivot_15rocblas_direct_T2_S8_PT0_lSA_lT1_lS8_lS8_,comdat
.Lfunc_end3:
	.size	_ZN9rocsolver6v33100L11lasr_kernelI19rocblas_complex_numIdEdPS3_iEEv13rocblas_side_14rocblas_pivot_15rocblas_direct_T2_S8_PT0_lSA_lT1_lS8_lS8_, .Lfunc_end3-_ZN9rocsolver6v33100L11lasr_kernelI19rocblas_complex_numIdEdPS3_iEEv13rocblas_side_14rocblas_pivot_15rocblas_direct_T2_S8_PT0_lSA_lT1_lS8_lS8_
                                        ; -- End function
	.section	.AMDGPU.csdata,"",@progbits
; Kernel info:
; codeLenInByte = 5308
; NumSgprs: 89
; NumVgprs: 55
; ScratchSize: 0
; MemoryBound: 0
; FloatMode: 240
; IeeeMode: 1
; LDSByteSize: 0 bytes/workgroup (compile time only)
; SGPRBlocks: 11
; VGPRBlocks: 6
; NumSGPRsForWavesPerEU: 89
; NumVGPRsForWavesPerEU: 55
; Occupancy: 16
; WaveLimiterHint : 0
; COMPUTE_PGM_RSRC2:SCRATCH_EN: 0
; COMPUTE_PGM_RSRC2:USER_SGPR: 14
; COMPUTE_PGM_RSRC2:TRAP_HANDLER: 0
; COMPUTE_PGM_RSRC2:TGID_X_EN: 1
; COMPUTE_PGM_RSRC2:TGID_Y_EN: 0
; COMPUTE_PGM_RSRC2:TGID_Z_EN: 1
; COMPUTE_PGM_RSRC2:TIDIG_COMP_CNT: 0
	.text
	.p2alignl 7, 3214868480
	.fill 96, 4, 3214868480
	.type	__hip_cuid_eca2c5625685cc8c,@object ; @__hip_cuid_eca2c5625685cc8c
	.section	.bss,"aw",@nobits
	.globl	__hip_cuid_eca2c5625685cc8c
__hip_cuid_eca2c5625685cc8c:
	.byte	0                               ; 0x0
	.size	__hip_cuid_eca2c5625685cc8c, 1

	.ident	"AMD clang version 19.0.0git (https://github.com/RadeonOpenCompute/llvm-project roc-6.4.0 25133 c7fe45cf4b819c5991fe208aaa96edf142730f1d)"
	.section	".note.GNU-stack","",@progbits
	.addrsig
	.addrsig_sym __hip_cuid_eca2c5625685cc8c
	.amdgpu_metadata
---
amdhsa.kernels:
  - .args:
      - .offset:         0
        .size:           4
        .value_kind:     by_value
      - .offset:         4
        .size:           4
        .value_kind:     by_value
      - .offset:         8
        .size:           4
        .value_kind:     by_value
      - .offset:         12
        .size:           4
        .value_kind:     by_value
      - .offset:         16
        .size:           4
        .value_kind:     by_value
      - .address_space:  global
        .offset:         24
        .size:           8
        .value_kind:     global_buffer
      - .offset:         32
        .size:           8
        .value_kind:     by_value
      - .address_space:  global
        .offset:         40
        .size:           8
        .value_kind:     global_buffer
      - .offset:         48
        .size:           8
        .value_kind:     by_value
      - .address_space:  global
        .offset:         56
        .size:           8
        .value_kind:     global_buffer
      - .offset:         64
        .size:           8
        .value_kind:     by_value
      - .offset:         72
        .size:           4
        .value_kind:     by_value
      - .offset:         80
        .size:           8
        .value_kind:     by_value
      - .offset:         88
        .size:           4
        .value_kind:     by_value
      - .offset:         96
        .size:           4
        .value_kind:     hidden_block_count_x
      - .offset:         100
        .size:           4
        .value_kind:     hidden_block_count_y
      - .offset:         104
        .size:           4
        .value_kind:     hidden_block_count_z
      - .offset:         108
        .size:           2
        .value_kind:     hidden_group_size_x
      - .offset:         110
        .size:           2
        .value_kind:     hidden_group_size_y
      - .offset:         112
        .size:           2
        .value_kind:     hidden_group_size_z
      - .offset:         114
        .size:           2
        .value_kind:     hidden_remainder_x
      - .offset:         116
        .size:           2
        .value_kind:     hidden_remainder_y
      - .offset:         118
        .size:           2
        .value_kind:     hidden_remainder_z
      - .offset:         136
        .size:           8
        .value_kind:     hidden_global_offset_x
      - .offset:         144
        .size:           8
        .value_kind:     hidden_global_offset_y
      - .offset:         152
        .size:           8
        .value_kind:     hidden_global_offset_z
      - .offset:         160
        .size:           2
        .value_kind:     hidden_grid_dims
    .group_segment_fixed_size: 0
    .kernarg_segment_align: 8
    .kernarg_segment_size: 352
    .language:       OpenCL C
    .language_version:
      - 2
      - 0
    .max_flat_workgroup_size: 64
    .name:           _ZN9rocsolver6v33100L11lasr_kernelIffPfiEEv13rocblas_side_14rocblas_pivot_15rocblas_direct_T2_S6_PT0_lS8_lT1_lS6_lS6_
    .private_segment_fixed_size: 0
    .sgpr_count:     89
    .sgpr_spill_count: 0
    .symbol:         _ZN9rocsolver6v33100L11lasr_kernelIffPfiEEv13rocblas_side_14rocblas_pivot_15rocblas_direct_T2_S6_PT0_lS8_lT1_lS6_lS6_.kd
    .uniform_work_group_size: 1
    .uses_dynamic_stack: false
    .vgpr_count:     41
    .vgpr_spill_count: 0
    .wavefront_size: 32
    .workgroup_processor_mode: 1
  - .args:
      - .offset:         0
        .size:           4
        .value_kind:     by_value
      - .offset:         4
        .size:           4
        .value_kind:     by_value
      - .offset:         8
        .size:           4
        .value_kind:     by_value
      - .offset:         12
        .size:           4
        .value_kind:     by_value
      - .offset:         16
        .size:           4
        .value_kind:     by_value
      - .address_space:  global
        .offset:         24
        .size:           8
        .value_kind:     global_buffer
      - .offset:         32
        .size:           8
        .value_kind:     by_value
      - .address_space:  global
        .offset:         40
        .size:           8
        .value_kind:     global_buffer
      - .offset:         48
        .size:           8
        .value_kind:     by_value
      - .address_space:  global
        .offset:         56
        .size:           8
        .value_kind:     global_buffer
      - .offset:         64
        .size:           8
        .value_kind:     by_value
      - .offset:         72
        .size:           4
        .value_kind:     by_value
      - .offset:         80
        .size:           8
        .value_kind:     by_value
      - .offset:         88
        .size:           4
        .value_kind:     by_value
      - .offset:         96
        .size:           4
        .value_kind:     hidden_block_count_x
      - .offset:         100
        .size:           4
        .value_kind:     hidden_block_count_y
      - .offset:         104
        .size:           4
        .value_kind:     hidden_block_count_z
      - .offset:         108
        .size:           2
        .value_kind:     hidden_group_size_x
      - .offset:         110
        .size:           2
        .value_kind:     hidden_group_size_y
      - .offset:         112
        .size:           2
        .value_kind:     hidden_group_size_z
      - .offset:         114
        .size:           2
        .value_kind:     hidden_remainder_x
      - .offset:         116
        .size:           2
        .value_kind:     hidden_remainder_y
      - .offset:         118
        .size:           2
        .value_kind:     hidden_remainder_z
      - .offset:         136
        .size:           8
        .value_kind:     hidden_global_offset_x
      - .offset:         144
        .size:           8
        .value_kind:     hidden_global_offset_y
      - .offset:         152
        .size:           8
        .value_kind:     hidden_global_offset_z
      - .offset:         160
        .size:           2
        .value_kind:     hidden_grid_dims
    .group_segment_fixed_size: 0
    .kernarg_segment_align: 8
    .kernarg_segment_size: 352
    .language:       OpenCL C
    .language_version:
      - 2
      - 0
    .max_flat_workgroup_size: 64
    .name:           _ZN9rocsolver6v33100L11lasr_kernelIddPdiEEv13rocblas_side_14rocblas_pivot_15rocblas_direct_T2_S6_PT0_lS8_lT1_lS6_lS6_
    .private_segment_fixed_size: 0
    .sgpr_count:     89
    .sgpr_spill_count: 0
    .symbol:         _ZN9rocsolver6v33100L11lasr_kernelIddPdiEEv13rocblas_side_14rocblas_pivot_15rocblas_direct_T2_S6_PT0_lS8_lT1_lS6_lS6_.kd
    .uniform_work_group_size: 1
    .uses_dynamic_stack: false
    .vgpr_count:     43
    .vgpr_spill_count: 0
    .wavefront_size: 32
    .workgroup_processor_mode: 1
  - .args:
      - .offset:         0
        .size:           4
        .value_kind:     by_value
      - .offset:         4
        .size:           4
        .value_kind:     by_value
      - .offset:         8
        .size:           4
        .value_kind:     by_value
      - .offset:         12
        .size:           4
        .value_kind:     by_value
      - .offset:         16
        .size:           4
        .value_kind:     by_value
      - .address_space:  global
        .offset:         24
        .size:           8
        .value_kind:     global_buffer
      - .offset:         32
        .size:           8
        .value_kind:     by_value
      - .address_space:  global
        .offset:         40
        .size:           8
        .value_kind:     global_buffer
      - .offset:         48
        .size:           8
        .value_kind:     by_value
      - .address_space:  global
        .offset:         56
        .size:           8
        .value_kind:     global_buffer
      - .offset:         64
        .size:           8
        .value_kind:     by_value
      - .offset:         72
        .size:           4
        .value_kind:     by_value
      - .offset:         80
        .size:           8
        .value_kind:     by_value
      - .offset:         88
        .size:           4
        .value_kind:     by_value
      - .offset:         96
        .size:           4
        .value_kind:     hidden_block_count_x
      - .offset:         100
        .size:           4
        .value_kind:     hidden_block_count_y
      - .offset:         104
        .size:           4
        .value_kind:     hidden_block_count_z
      - .offset:         108
        .size:           2
        .value_kind:     hidden_group_size_x
      - .offset:         110
        .size:           2
        .value_kind:     hidden_group_size_y
      - .offset:         112
        .size:           2
        .value_kind:     hidden_group_size_z
      - .offset:         114
        .size:           2
        .value_kind:     hidden_remainder_x
      - .offset:         116
        .size:           2
        .value_kind:     hidden_remainder_y
      - .offset:         118
        .size:           2
        .value_kind:     hidden_remainder_z
      - .offset:         136
        .size:           8
        .value_kind:     hidden_global_offset_x
      - .offset:         144
        .size:           8
        .value_kind:     hidden_global_offset_y
      - .offset:         152
        .size:           8
        .value_kind:     hidden_global_offset_z
      - .offset:         160
        .size:           2
        .value_kind:     hidden_grid_dims
    .group_segment_fixed_size: 0
    .kernarg_segment_align: 8
    .kernarg_segment_size: 352
    .language:       OpenCL C
    .language_version:
      - 2
      - 0
    .max_flat_workgroup_size: 64
    .name:           _ZN9rocsolver6v33100L11lasr_kernelI19rocblas_complex_numIfEfPS3_iEEv13rocblas_side_14rocblas_pivot_15rocblas_direct_T2_S8_PT0_lSA_lT1_lS8_lS8_
    .private_segment_fixed_size: 0
    .sgpr_count:     89
    .sgpr_spill_count: 0
    .symbol:         _ZN9rocsolver6v33100L11lasr_kernelI19rocblas_complex_numIfEfPS3_iEEv13rocblas_side_14rocblas_pivot_15rocblas_direct_T2_S8_PT0_lSA_lT1_lS8_lS8_.kd
    .uniform_work_group_size: 1
    .uses_dynamic_stack: false
    .vgpr_count:     47
    .vgpr_spill_count: 0
    .wavefront_size: 32
    .workgroup_processor_mode: 1
  - .args:
      - .offset:         0
        .size:           4
        .value_kind:     by_value
      - .offset:         4
        .size:           4
        .value_kind:     by_value
      - .offset:         8
        .size:           4
        .value_kind:     by_value
      - .offset:         12
        .size:           4
        .value_kind:     by_value
      - .offset:         16
        .size:           4
        .value_kind:     by_value
      - .address_space:  global
        .offset:         24
        .size:           8
        .value_kind:     global_buffer
      - .offset:         32
        .size:           8
        .value_kind:     by_value
      - .address_space:  global
        .offset:         40
        .size:           8
        .value_kind:     global_buffer
      - .offset:         48
        .size:           8
        .value_kind:     by_value
      - .address_space:  global
        .offset:         56
        .size:           8
        .value_kind:     global_buffer
      - .offset:         64
        .size:           8
        .value_kind:     by_value
      - .offset:         72
        .size:           4
        .value_kind:     by_value
      - .offset:         80
        .size:           8
        .value_kind:     by_value
      - .offset:         88
        .size:           4
        .value_kind:     by_value
      - .offset:         96
        .size:           4
        .value_kind:     hidden_block_count_x
      - .offset:         100
        .size:           4
        .value_kind:     hidden_block_count_y
      - .offset:         104
        .size:           4
        .value_kind:     hidden_block_count_z
      - .offset:         108
        .size:           2
        .value_kind:     hidden_group_size_x
      - .offset:         110
        .size:           2
        .value_kind:     hidden_group_size_y
      - .offset:         112
        .size:           2
        .value_kind:     hidden_group_size_z
      - .offset:         114
        .size:           2
        .value_kind:     hidden_remainder_x
      - .offset:         116
        .size:           2
        .value_kind:     hidden_remainder_y
      - .offset:         118
        .size:           2
        .value_kind:     hidden_remainder_z
      - .offset:         136
        .size:           8
        .value_kind:     hidden_global_offset_x
      - .offset:         144
        .size:           8
        .value_kind:     hidden_global_offset_y
      - .offset:         152
        .size:           8
        .value_kind:     hidden_global_offset_z
      - .offset:         160
        .size:           2
        .value_kind:     hidden_grid_dims
    .group_segment_fixed_size: 0
    .kernarg_segment_align: 8
    .kernarg_segment_size: 352
    .language:       OpenCL C
    .language_version:
      - 2
      - 0
    .max_flat_workgroup_size: 64
    .name:           _ZN9rocsolver6v33100L11lasr_kernelI19rocblas_complex_numIdEdPS3_iEEv13rocblas_side_14rocblas_pivot_15rocblas_direct_T2_S8_PT0_lSA_lT1_lS8_lS8_
    .private_segment_fixed_size: 0
    .sgpr_count:     89
    .sgpr_spill_count: 0
    .symbol:         _ZN9rocsolver6v33100L11lasr_kernelI19rocblas_complex_numIdEdPS3_iEEv13rocblas_side_14rocblas_pivot_15rocblas_direct_T2_S8_PT0_lSA_lT1_lS8_lS8_.kd
    .uniform_work_group_size: 1
    .uses_dynamic_stack: false
    .vgpr_count:     55
    .vgpr_spill_count: 0
    .wavefront_size: 32
    .workgroup_processor_mode: 1
amdhsa.target:   amdgcn-amd-amdhsa--gfx1100
amdhsa.version:
  - 1
  - 2
...

	.end_amdgpu_metadata
